;; amdgpu-corpus repo=ROCm/rocFFT kind=compiled arch=gfx950 opt=O3
	.text
	.amdgcn_target "amdgcn-amd-amdhsa--gfx950"
	.amdhsa_code_object_version 6
	.protected	fft_rtc_fwd_len1925_factors_7_11_5_5_wgs_55_tpt_55_halfLds_dp_ip_CI_sbrr_dirReg ; -- Begin function fft_rtc_fwd_len1925_factors_7_11_5_5_wgs_55_tpt_55_halfLds_dp_ip_CI_sbrr_dirReg
	.globl	fft_rtc_fwd_len1925_factors_7_11_5_5_wgs_55_tpt_55_halfLds_dp_ip_CI_sbrr_dirReg
	.p2align	8
	.type	fft_rtc_fwd_len1925_factors_7_11_5_5_wgs_55_tpt_55_halfLds_dp_ip_CI_sbrr_dirReg,@function
fft_rtc_fwd_len1925_factors_7_11_5_5_wgs_55_tpt_55_halfLds_dp_ip_CI_sbrr_dirReg: ; @fft_rtc_fwd_len1925_factors_7_11_5_5_wgs_55_tpt_55_halfLds_dp_ip_CI_sbrr_dirReg
; %bb.0:
	s_load_dwordx2 s[12:13], s[0:1], 0x18
	s_load_dwordx4 s[4:7], s[0:1], 0x0
	s_load_dwordx2 s[10:11], s[0:1], 0x50
	v_mul_u32_u24_e32 v1, 0x4a8, v0
	v_add_u32_sdwa v6, s2, v1 dst_sel:DWORD dst_unused:UNUSED_PAD src0_sel:DWORD src1_sel:WORD_1
	s_waitcnt lgkmcnt(0)
	s_load_dwordx2 s[8:9], s[12:13], 0x0
	v_mov_b32_e32 v4, 0
	v_cmp_lt_u64_e64 s[2:3], s[6:7], 2
	v_mov_b32_e32 v7, v4
	s_and_b64 vcc, exec, s[2:3]
	v_mov_b64_e32 v[2:3], 0
	s_cbranch_vccnz .LBB0_8
; %bb.1:
	s_load_dwordx2 s[2:3], s[0:1], 0x10
	s_add_u32 s14, s12, 8
	s_addc_u32 s15, s13, 0
	s_mov_b64 s[16:17], 1
	v_mov_b64_e32 v[2:3], 0
	s_waitcnt lgkmcnt(0)
	s_add_u32 s18, s2, 8
	s_addc_u32 s19, s3, 0
.LBB0_2:                                ; =>This Inner Loop Header: Depth=1
	s_load_dwordx2 s[20:21], s[18:19], 0x0
                                        ; implicit-def: $vgpr8_vgpr9
	s_waitcnt lgkmcnt(0)
	v_or_b32_e32 v5, s21, v7
	v_cmp_ne_u64_e32 vcc, 0, v[4:5]
	s_and_saveexec_b64 s[2:3], vcc
	s_xor_b64 s[22:23], exec, s[2:3]
	s_cbranch_execz .LBB0_4
; %bb.3:                                ;   in Loop: Header=BB0_2 Depth=1
	v_cvt_f32_u32_e32 v1, s20
	v_cvt_f32_u32_e32 v5, s21
	s_sub_u32 s2, 0, s20
	s_subb_u32 s3, 0, s21
	v_fmac_f32_e32 v1, 0x4f800000, v5
	v_rcp_f32_e32 v1, v1
	s_nop 0
	v_mul_f32_e32 v1, 0x5f7ffffc, v1
	v_mul_f32_e32 v5, 0x2f800000, v1
	v_trunc_f32_e32 v5, v5
	v_fmac_f32_e32 v1, 0xcf800000, v5
	v_cvt_u32_f32_e32 v5, v5
	v_cvt_u32_f32_e32 v1, v1
	v_mul_lo_u32 v8, s2, v5
	v_mul_hi_u32 v10, s2, v1
	v_mul_lo_u32 v9, s3, v1
	v_add_u32_e32 v10, v10, v8
	v_mul_lo_u32 v12, s2, v1
	v_add_u32_e32 v13, v10, v9
	v_mul_hi_u32 v8, v1, v12
	v_mul_hi_u32 v11, v1, v13
	v_mul_lo_u32 v10, v1, v13
	v_mov_b32_e32 v9, v4
	v_lshl_add_u64 v[8:9], v[8:9], 0, v[10:11]
	v_mul_hi_u32 v11, v5, v12
	v_mul_lo_u32 v12, v5, v12
	v_add_co_u32_e32 v8, vcc, v8, v12
	v_mul_hi_u32 v10, v5, v13
	s_nop 0
	v_addc_co_u32_e32 v8, vcc, v9, v11, vcc
	v_mov_b32_e32 v9, v4
	s_nop 0
	v_addc_co_u32_e32 v11, vcc, 0, v10, vcc
	v_mul_lo_u32 v10, v5, v13
	v_lshl_add_u64 v[8:9], v[8:9], 0, v[10:11]
	v_add_co_u32_e32 v1, vcc, v1, v8
	v_mul_lo_u32 v10, s2, v1
	s_nop 0
	v_addc_co_u32_e32 v5, vcc, v5, v9, vcc
	v_mul_lo_u32 v8, s2, v5
	v_mul_hi_u32 v9, s2, v1
	v_add_u32_e32 v8, v9, v8
	v_mul_lo_u32 v9, s3, v1
	v_add_u32_e32 v12, v8, v9
	v_mul_hi_u32 v14, v5, v10
	v_mul_lo_u32 v15, v5, v10
	v_mul_hi_u32 v9, v1, v12
	v_mul_lo_u32 v8, v1, v12
	v_mul_hi_u32 v10, v1, v10
	v_mov_b32_e32 v11, v4
	v_lshl_add_u64 v[8:9], v[10:11], 0, v[8:9]
	v_add_co_u32_e32 v8, vcc, v8, v15
	v_mul_hi_u32 v13, v5, v12
	s_nop 0
	v_addc_co_u32_e32 v8, vcc, v9, v14, vcc
	v_mul_lo_u32 v10, v5, v12
	s_nop 0
	v_addc_co_u32_e32 v11, vcc, 0, v13, vcc
	v_mov_b32_e32 v9, v4
	v_lshl_add_u64 v[8:9], v[8:9], 0, v[10:11]
	v_add_co_u32_e32 v1, vcc, v1, v8
	v_mul_hi_u32 v10, v6, v1
	s_nop 0
	v_addc_co_u32_e32 v5, vcc, v5, v9, vcc
	v_mad_u64_u32 v[8:9], s[2:3], v6, v5, 0
	v_mov_b32_e32 v11, v4
	v_lshl_add_u64 v[8:9], v[10:11], 0, v[8:9]
	v_mad_u64_u32 v[12:13], s[2:3], v7, v1, 0
	v_add_co_u32_e32 v1, vcc, v8, v12
	v_mad_u64_u32 v[10:11], s[2:3], v7, v5, 0
	s_nop 0
	v_addc_co_u32_e32 v8, vcc, v9, v13, vcc
	v_mov_b32_e32 v9, v4
	s_nop 0
	v_addc_co_u32_e32 v11, vcc, 0, v11, vcc
	v_lshl_add_u64 v[8:9], v[8:9], 0, v[10:11]
	v_mul_lo_u32 v1, s21, v8
	v_mul_lo_u32 v5, s20, v9
	v_mad_u64_u32 v[10:11], s[2:3], s20, v8, 0
	v_add3_u32 v1, v11, v5, v1
	v_sub_u32_e32 v5, v7, v1
	v_mov_b32_e32 v11, s21
	v_sub_co_u32_e32 v14, vcc, v6, v10
	v_lshl_add_u64 v[12:13], v[8:9], 0, 1
	s_nop 0
	v_subb_co_u32_e64 v5, s[2:3], v5, v11, vcc
	v_subrev_co_u32_e64 v10, s[2:3], s20, v14
	v_subb_co_u32_e32 v1, vcc, v7, v1, vcc
	s_nop 0
	v_subbrev_co_u32_e64 v5, s[2:3], 0, v5, s[2:3]
	v_cmp_le_u32_e64 s[2:3], s21, v5
	v_cmp_le_u32_e32 vcc, s21, v1
	s_nop 0
	v_cndmask_b32_e64 v11, 0, -1, s[2:3]
	v_cmp_le_u32_e64 s[2:3], s20, v10
	s_nop 1
	v_cndmask_b32_e64 v10, 0, -1, s[2:3]
	v_cmp_eq_u32_e64 s[2:3], s21, v5
	s_nop 1
	v_cndmask_b32_e64 v5, v11, v10, s[2:3]
	v_lshl_add_u64 v[10:11], v[8:9], 0, 2
	v_cmp_ne_u32_e64 s[2:3], 0, v5
	s_nop 1
	v_cndmask_b32_e64 v5, v13, v11, s[2:3]
	v_cndmask_b32_e64 v11, 0, -1, vcc
	v_cmp_le_u32_e32 vcc, s20, v14
	s_nop 1
	v_cndmask_b32_e64 v13, 0, -1, vcc
	v_cmp_eq_u32_e32 vcc, s21, v1
	s_nop 1
	v_cndmask_b32_e32 v1, v11, v13, vcc
	v_cmp_ne_u32_e32 vcc, 0, v1
	v_cndmask_b32_e64 v1, v12, v10, s[2:3]
	s_nop 0
	v_cndmask_b32_e32 v9, v9, v5, vcc
	v_cndmask_b32_e32 v8, v8, v1, vcc
.LBB0_4:                                ;   in Loop: Header=BB0_2 Depth=1
	s_andn2_saveexec_b64 s[2:3], s[22:23]
	s_cbranch_execz .LBB0_6
; %bb.5:                                ;   in Loop: Header=BB0_2 Depth=1
	v_cvt_f32_u32_e32 v1, s20
	s_sub_i32 s22, 0, s20
	v_rcp_iflag_f32_e32 v1, v1
	s_nop 0
	v_mul_f32_e32 v1, 0x4f7ffffe, v1
	v_cvt_u32_f32_e32 v1, v1
	v_mul_lo_u32 v5, s22, v1
	v_mul_hi_u32 v5, v1, v5
	v_add_u32_e32 v1, v1, v5
	v_mul_hi_u32 v1, v6, v1
	v_mul_lo_u32 v5, v1, s20
	v_sub_u32_e32 v5, v6, v5
	v_add_u32_e32 v8, 1, v1
	v_subrev_u32_e32 v9, s20, v5
	v_cmp_le_u32_e32 vcc, s20, v5
	s_nop 1
	v_cndmask_b32_e32 v5, v5, v9, vcc
	v_cndmask_b32_e32 v1, v1, v8, vcc
	v_add_u32_e32 v8, 1, v1
	v_cmp_le_u32_e32 vcc, s20, v5
	v_mov_b32_e32 v9, v4
	s_nop 0
	v_cndmask_b32_e32 v8, v1, v8, vcc
.LBB0_6:                                ;   in Loop: Header=BB0_2 Depth=1
	s_or_b64 exec, exec, s[2:3]
	v_mad_u64_u32 v[10:11], s[2:3], v8, s20, 0
	s_load_dwordx2 s[2:3], s[14:15], 0x0
	v_mul_lo_u32 v1, v9, s20
	v_mul_lo_u32 v5, v8, s21
	v_add3_u32 v1, v11, v5, v1
	v_sub_co_u32_e32 v5, vcc, v6, v10
	s_add_u32 s16, s16, 1
	s_nop 0
	v_subb_co_u32_e32 v1, vcc, v7, v1, vcc
	s_addc_u32 s17, s17, 0
	s_waitcnt lgkmcnt(0)
	v_mul_lo_u32 v1, s2, v1
	v_mul_lo_u32 v6, s3, v5
	v_mad_u64_u32 v[2:3], s[2:3], s2, v5, v[2:3]
	s_add_u32 s14, s14, 8
	v_add3_u32 v3, v6, v3, v1
	s_addc_u32 s15, s15, 0
	v_mov_b64_e32 v[6:7], s[6:7]
	s_add_u32 s18, s18, 8
	v_cmp_ge_u64_e32 vcc, s[16:17], v[6:7]
	s_addc_u32 s19, s19, 0
	s_cbranch_vccnz .LBB0_9
; %bb.7:                                ;   in Loop: Header=BB0_2 Depth=1
	v_mov_b64_e32 v[6:7], v[8:9]
	s_branch .LBB0_2
.LBB0_8:
	v_mov_b64_e32 v[8:9], v[6:7]
.LBB0_9:
	s_lshl_b64 s[2:3], s[6:7], 3
	s_add_u32 s2, s12, s2
	s_addc_u32 s3, s13, s3
	s_load_dwordx2 s[6:7], s[2:3], 0x0
	s_load_dwordx2 s[12:13], s[0:1], 0x20
	s_mov_b32 s2, 0x4a7904b
                                        ; implicit-def: $vgpr248
                                        ; implicit-def: $vgpr229
                                        ; implicit-def: $vgpr249
                                        ; implicit-def: $agpr5
	s_waitcnt lgkmcnt(0)
	v_mul_lo_u32 v1, s6, v9
	v_mul_lo_u32 v4, s7, v8
	v_mad_u64_u32 v[2:3], s[0:1], s6, v8, v[2:3]
	v_add3_u32 v3, v4, v3, v1
	v_mul_hi_u32 v1, v0, s2
	v_mul_u32_u24_e32 v1, 55, v1
	v_sub_u32_e32 v228, v0, v1
	v_add_u32_e32 v0, 55, v228
	v_cmp_gt_u64_e32 vcc, s[12:13], v[8:9]
	v_cmp_le_u64_e64 s[0:1], s[12:13], v[8:9]
	v_accvgpr_write_b32 a1, v0
	s_and_saveexec_b64 s[2:3], s[0:1]
	s_xor_b64 s[0:1], exec, s[2:3]
; %bb.10:
	v_add_u32_e32 v0, 0xdc, v228
	v_add_u32_e32 v248, 55, v228
	;; [unrolled: 1-line block ×4, first 2 shown]
	v_accvgpr_write_b32 a5, v0
; %bb.11:
	s_or_saveexec_b64 s[0:1], s[0:1]
	v_lshl_add_u64 v[216:217], v[2:3], 4, s[10:11]
                                        ; implicit-def: $vgpr78_vgpr79
                                        ; implicit-def: $vgpr62_vgpr63
                                        ; implicit-def: $vgpr54_vgpr55
                                        ; implicit-def: $vgpr30_vgpr31
                                        ; implicit-def: $vgpr58_vgpr59
                                        ; implicit-def: $vgpr66_vgpr67
                                        ; implicit-def: $vgpr2_vgpr3
                                        ; implicit-def: $vgpr112_vgpr113
                                        ; implicit-def: $vgpr108_vgpr109
                                        ; implicit-def: $vgpr96_vgpr97
                                        ; implicit-def: $vgpr92_vgpr93
                                        ; implicit-def: $vgpr104_vgpr105
                                        ; implicit-def: $vgpr100_vgpr101
                                        ; implicit-def: $vgpr88_vgpr89
                                        ; implicit-def: $vgpr140_vgpr141
                                        ; implicit-def: $vgpr136_vgpr137
                                        ; implicit-def: $vgpr132_vgpr133
                                        ; implicit-def: $vgpr120_vgpr121
                                        ; implicit-def: $vgpr124_vgpr125
                                        ; implicit-def: $vgpr128_vgpr129
                                        ; implicit-def: $vgpr116_vgpr117
                                        ; implicit-def: $vgpr178_vgpr179
                                        ; implicit-def: $vgpr174_vgpr175
                                        ; implicit-def: $vgpr158_vgpr159
                                        ; implicit-def: $vgpr154_vgpr155
                                        ; implicit-def: $vgpr162_vgpr163
                                        ; implicit-def: $vgpr166_vgpr167
                                        ; implicit-def: $vgpr146_vgpr147
                                        ; implicit-def: $vgpr206_vgpr207
                                        ; implicit-def: $vgpr198_vgpr199
                                        ; implicit-def: $vgpr190_vgpr191
                                        ; implicit-def: $vgpr186_vgpr187
                                        ; implicit-def: $vgpr194_vgpr195
                                        ; implicit-def: $vgpr202_vgpr203
                                        ; implicit-def: $vgpr224_vgpr225
	s_xor_b64 exec, exec, s[0:1]
	s_cbranch_execz .LBB0_13
; %bb.12:
	v_mad_u64_u32 v[0:1], s[2:3], s8, v228, 0
	v_mov_b32_e32 v2, v1
	v_mad_u64_u32 v[2:3], s[2:3], s9, v228, v[2:3]
	v_add_u32_e32 v5, 0x113, v228
	v_mov_b32_e32 v1, v2
	v_mad_u64_u32 v[2:3], s[2:3], s8, v5, 0
	v_mov_b32_e32 v4, v3
	v_mad_u64_u32 v[4:5], s[2:3], s9, v5, v[4:5]
	v_add_u32_e32 v7, 0x226, v228
	v_mov_b32_e32 v3, v4
	;; [unrolled: 5-line block ×6, first 2 shown]
	v_mad_u64_u32 v[12:13], s[2:3], s8, v15, 0
	v_mov_b32_e32 v14, v13
	v_mad_u64_u32 v[14:15], s[2:3], s9, v15, v[14:15]
	v_accvgpr_read_b32 v74, a1
	v_mov_b32_e32 v13, v14
	v_mad_u64_u32 v[14:15], s[2:3], s8, v74, 0
	v_mov_b32_e32 v16, v15
	v_mad_u64_u32 v[16:17], s[2:3], s9, v74, v[16:17]
	v_add_u32_e32 v19, 0x14a, v228
	v_mov_b32_e32 v15, v16
	v_mad_u64_u32 v[16:17], s[2:3], s8, v19, 0
	v_mov_b32_e32 v18, v17
	v_mad_u64_u32 v[18:19], s[2:3], s9, v19, v[18:19]
	v_add_u32_e32 v21, 0x25d, v228
	;; [unrolled: 5-line block ×21, first 2 shown]
	v_mov_b32_e32 v55, v56
	v_mad_u64_u32 v[56:57], s[2:3], s8, v59, 0
	v_mov_b32_e32 v58, v57
	v_accvgpr_write_b32 a5, v59
	v_mad_u64_u32 v[58:59], s[2:3], s9, v59, v[58:59]
	v_add_u32_e32 v61, 0x1ef, v228
	v_mov_b32_e32 v57, v58
	v_mad_u64_u32 v[58:59], s[2:3], s8, v61, 0
	v_mov_b32_e32 v60, v59
	v_mad_u64_u32 v[60:61], s[2:3], s9, v61, v[60:61]
	v_add_u32_e32 v63, 0x302, v228
	v_mov_b32_e32 v59, v60
	v_mad_u64_u32 v[60:61], s[2:3], s8, v63, 0
	v_mov_b32_e32 v62, v61
	;; [unrolled: 5-line block ×6, first 2 shown]
	v_mad_u64_u32 v[70:71], s[2:3], s9, v71, v[70:71]
	v_mov_b32_e32 v69, v70
	v_lshl_add_u64 v[0:1], v[0:1], 4, v[216:217]
	v_lshl_add_u64 v[2:3], v[2:3], 4, v[216:217]
	;; [unrolled: 1-line block ×35, first 2 shown]
	global_load_dwordx4 v[222:225], v[0:1], off
	global_load_dwordx4 v[200:203], v[2:3], off
	;; [unrolled: 1-line block ×12, first 2 shown]
                                        ; kill: killed $vgpr22_vgpr23
                                        ; kill: killed $vgpr4_vgpr5
                                        ; kill: killed $vgpr14_vgpr15
                                        ; kill: killed $vgpr10_vgpr11
                                        ; kill: killed $vgpr20_vgpr21
                                        ; kill: killed $vgpr2_vgpr3
                                        ; kill: killed $vgpr8_vgpr9
                                        ; kill: killed $vgpr18_vgpr19
                                        ; kill: killed $vgpr0_vgpr1
                                        ; kill: killed $vgpr6_vgpr7
                                        ; kill: killed $vgpr16_vgpr17
                                        ; kill: killed $vgpr12_vgpr13
	global_load_dwordx4 v[172:175], v[24:25], off
	global_load_dwordx4 v[176:179], v[26:27], off
	;; [unrolled: 1-line block ×6, first 2 shown]
                                        ; kill: killed $vgpr32_vgpr33
                                        ; kill: killed $vgpr30_vgpr31
                                        ; kill: killed $vgpr26_vgpr27
                                        ; kill: killed $vgpr28_vgpr29
                                        ; kill: killed $vgpr24_vgpr25
                                        ; kill: killed $vgpr34_vgpr35
	global_load_dwordx4 v[130:133], v[36:37], off
	global_load_dwordx4 v[134:137], v[38:39], off
	;; [unrolled: 1-line block ×3, first 2 shown]
                                        ; kill: killed $vgpr38_vgpr39
                                        ; kill: killed $vgpr36_vgpr37
                                        ; kill: killed $vgpr40_vgpr41
	global_load_dwordx4 v[86:89], v[42:43], off
	global_load_dwordx4 v[98:101], v[44:45], off
                                        ; kill: killed $vgpr42_vgpr43
                                        ; kill: killed $vgpr44_vgpr45
	global_load_dwordx4 v[102:105], v[46:47], off
	global_load_dwordx4 v[90:93], v[48:49], off
	;; [unrolled: 1-line block ×7, first 2 shown]
	s_nop 0
	global_load_dwordx4 v[56:59], v[60:61], off
	global_load_dwordx4 v[28:31], v[62:63], off
	;; [unrolled: 1-line block ×3, first 2 shown]
	s_nop 0
	global_load_dwordx4 v[60:63], v[72:73], off
	global_load_dwordx4 v[76:79], v[68:69], off
	v_accvgpr_read_b32 v248, a1
.LBB0_13:
	s_or_b64 exec, exec, s[0:1]
	s_waitcnt vmcnt(28)
	v_add_f64 v[4:5], v[204:205], v[200:201]
	v_add_f64 v[8:9], v[196:197], v[192:193]
	v_add_f64 v[10:11], v[194:195], -v[198:199]
	v_add_f64 v[12:13], v[188:189], v[184:185]
	v_add_f64 v[14:15], v[190:191], -v[186:187]
	;; [unrolled: 2-line block ×3, first 2 shown]
	v_add_f64 v[18:19], v[8:9], -v[4:5]
	v_add_f64 v[20:21], v[4:5], -v[12:13]
	;; [unrolled: 1-line block ×3, first 2 shown]
	v_add_f64 v[4:5], v[14:15], v[10:11]
	v_add_f64 v[12:13], v[12:13], v[16:17]
	v_add_f64 v[16:17], v[14:15], -v[10:11]
	v_add_f64 v[14:15], v[6:7], -v[14:15]
	;; [unrolled: 1-line block ×3, first 2 shown]
	v_add_f64 v[6:7], v[4:5], v[6:7]
	v_add_f64 v[4:5], v[222:223], v[12:13]
	s_mov_b32 s2, 0xaaaaaaaa
	s_mov_b32 s12, 0x37e14327
	;; [unrolled: 1-line block ×4, first 2 shown]
	v_mov_b64_e32 v[22:23], v[4:5]
	s_mov_b32 s13, 0x3fe948f6
	s_mov_b32 s7, 0x3fac98ee
	;; [unrolled: 1-line block ×4, first 2 shown]
	v_fmac_f64_e32 v[22:23], s[2:3], v[12:13]
	v_mul_f64 v[12:13], v[20:21], s[12:13]
	s_mov_b32 s11, 0x3fe77f67
	v_mul_f64 v[20:21], v[8:9], s[6:7]
	s_mov_b32 s15, 0xbfe77f67
	s_mov_b32 s14, s10
	;; [unrolled: 1-line block ×5, first 2 shown]
	v_fma_f64 v[20:21], v[18:19], s[10:11], -v[20:21]
	v_fma_f64 v[18:19], v[18:19], s[14:15], -v[12:13]
	v_fmac_f64_e32 v[12:13], s[6:7], v[8:9]
	v_mul_f64 v[8:9], v[16:17], s[22:23]
	s_mov_b32 s19, 0x3febfeb5
	s_mov_b32 s17, 0x3fd5d0dc
	;; [unrolled: 1-line block ×3, first 2 shown]
	v_mul_f64 v[16:17], v[10:11], s[18:19]
	v_fma_f64 v[10:11], v[10:11], s[18:19], -v[8:9]
	v_fmac_f64_e32 v[8:9], s[16:17], v[14:15]
	s_mov_b32 s25, 0xbfd5d0dc
	s_mov_b32 s24, s16
	s_mov_b32 s21, 0x3fdc38aa
	v_fma_f64 v[14:15], v[14:15], s[24:25], -v[16:17]
	v_add_f64 v[12:13], v[12:13], v[22:23]
	v_fmac_f64_e32 v[8:9], s[20:21], v[6:7]
	v_add_f64 v[16:17], v[20:21], v[22:23]
	v_add_f64 v[18:19], v[18:19], v[22:23]
	v_fmac_f64_e32 v[10:11], s[20:21], v[6:7]
	v_fmac_f64_e32 v[14:15], s[20:21], v[6:7]
	v_add_f64 v[20:21], v[8:9], v[12:13]
	v_mad_u32_u24 v232, v228, 56, 0
	v_add_f64 v[22:23], v[16:17], -v[10:11]
	v_add_f64 v[10:11], v[10:11], v[16:17]
	v_add_f64 v[16:17], v[14:15], v[18:19]
	v_add_f64 v[14:15], v[18:19], -v[14:15]
	v_add_f64 v[6:7], v[12:13], -v[8:9]
	s_waitcnt vmcnt(21)
	v_add_f64 v[12:13], v[176:177], v[164:165]
	ds_write2_b64 v232, v[4:5], v[20:21] offset1:1
	v_add_f64 v[4:5], v[172:173], v[160:161]
	v_add_f64 v[18:19], v[162:163], -v[174:175]
	ds_write2_b64 v232, v[16:17], v[22:23] offset0:2 offset1:3
	v_add_f64 v[16:17], v[156:157], v[152:153]
	v_add_f64 v[20:21], v[158:159], -v[154:155]
	ds_write2_b64 v232, v[10:11], v[14:15] offset0:4 offset1:5
	v_add_f64 v[10:11], v[4:5], v[12:13]
	v_add_f64 v[8:9], v[166:167], -v[178:179]
	v_add_f64 v[14:15], v[4:5], -v[12:13]
	;; [unrolled: 1-line block ×4, first 2 shown]
	v_add_f64 v[10:11], v[16:17], v[10:11]
	v_add_f64 v[16:17], v[20:21], v[18:19]
	v_add_f64 v[22:23], v[20:21], -v[18:19]
	v_add_f64 v[20:21], v[8:9], -v[20:21]
	;; [unrolled: 1-line block ×3, first 2 shown]
	v_add_f64 v[8:9], v[16:17], v[8:9]
	v_add_f64 v[16:17], v[144:145], v[10:11]
	v_mov_b64_e32 v[24:25], v[16:17]
	v_fmac_f64_e32 v[24:25], s[2:3], v[10:11]
	v_mul_f64 v[10:11], v[12:13], s[12:13]
	v_mul_f64 v[12:13], v[4:5], s[6:7]
	v_fma_f64 v[12:13], v[14:15], s[10:11], -v[12:13]
	v_fma_f64 v[14:15], v[14:15], s[14:15], -v[10:11]
	v_fmac_f64_e32 v[10:11], s[6:7], v[4:5]
	v_mul_f64 v[4:5], v[22:23], s[22:23]
	v_mul_f64 v[22:23], v[18:19], s[18:19]
	v_fma_f64 v[18:19], v[18:19], s[18:19], -v[4:5]
	v_fmac_f64_e32 v[4:5], s[16:17], v[20:21]
	v_fma_f64 v[20:21], v[20:21], s[24:25], -v[22:23]
	v_add_f64 v[10:11], v[10:11], v[24:25]
	v_add_f64 v[12:13], v[12:13], v[24:25]
	;; [unrolled: 1-line block ×3, first 2 shown]
	v_fmac_f64_e32 v[4:5], s[20:21], v[8:9]
	v_fmac_f64_e32 v[18:19], s[20:21], v[8:9]
	;; [unrolled: 1-line block ×3, first 2 shown]
	v_add_f64 v[8:9], v[12:13], -v[18:19]
	v_add_f64 v[12:13], v[18:19], v[12:13]
	v_add_f64 v[18:19], v[20:21], v[14:15]
	v_add_f64 v[14:15], v[14:15], -v[20:21]
	v_add_f64 v[20:21], v[4:5], v[10:11]
	v_mad_i32_i24 v231, v248, 56, 0
	v_add_f64 v[4:5], v[10:11], -v[4:5]
	s_waitcnt vmcnt(14)
	v_add_f64 v[10:11], v[138:139], v[126:127]
	ds_write_b64 v232, v[6:7] offset:48
	ds_write2_b64 v231, v[16:17], v[20:21] offset1:1
	v_add_f64 v[16:17], v[134:135], v[122:123]
	ds_write2_b64 v231, v[18:19], v[8:9] offset0:2 offset1:3
	v_add_f64 v[18:19], v[130:131], v[118:119]
	ds_write2_b64 v231, v[12:13], v[14:15] offset0:4 offset1:5
	v_add_f64 v[12:13], v[16:17], v[10:11]
	v_add_f64 v[8:9], v[124:125], -v[136:137]
	v_add_f64 v[14:15], v[16:17], -v[10:11]
	;; [unrolled: 1-line block ×4, first 2 shown]
	v_add_f64 v[12:13], v[18:19], v[12:13]
	v_add_f64 v[18:19], v[132:133], -v[120:121]
	v_add_f64 v[6:7], v[128:129], -v[140:141]
	v_add_f64 v[20:21], v[18:19], v[8:9]
	v_add_f64 v[22:23], v[18:19], -v[8:9]
	v_add_f64 v[18:19], v[6:7], -v[18:19]
	;; [unrolled: 1-line block ×3, first 2 shown]
	v_add_f64 v[6:7], v[20:21], v[6:7]
	v_add_f64 v[20:21], v[114:115], v[12:13]
	v_mov_b64_e32 v[24:25], v[20:21]
	v_fmac_f64_e32 v[24:25], s[2:3], v[12:13]
	v_mul_f64 v[10:11], v[10:11], s[12:13]
	v_mul_f64 v[12:13], v[16:17], s[6:7]
	v_fma_f64 v[12:13], v[14:15], s[10:11], -v[12:13]
	v_fma_f64 v[14:15], v[14:15], s[14:15], -v[10:11]
	v_fmac_f64_e32 v[10:11], s[6:7], v[16:17]
	v_mul_f64 v[16:17], v[22:23], s[22:23]
	v_mul_f64 v[22:23], v[8:9], s[18:19]
	v_fma_f64 v[8:9], v[8:9], s[18:19], -v[16:17]
	v_fmac_f64_e32 v[16:17], s[16:17], v[18:19]
	v_fma_f64 v[18:19], v[18:19], s[24:25], -v[22:23]
	v_add_f64 v[10:11], v[10:11], v[24:25]
	v_add_f64 v[12:13], v[12:13], v[24:25]
	;; [unrolled: 1-line block ×3, first 2 shown]
	v_fmac_f64_e32 v[16:17], s[20:21], v[6:7]
	v_fmac_f64_e32 v[8:9], s[20:21], v[6:7]
	;; [unrolled: 1-line block ×3, first 2 shown]
	v_add_f64 v[6:7], v[12:13], -v[8:9]
	v_add_f64 v[8:9], v[8:9], v[12:13]
	v_add_f64 v[12:13], v[18:19], v[14:15]
	v_add_f64 v[14:15], v[14:15], -v[18:19]
	v_add_f64 v[18:19], v[16:17], v[10:11]
	v_mad_i32_i24 v233, v229, 56, 0
	ds_write_b64 v231, v[4:5] offset:48
	s_waitcnt vmcnt(7)
	v_add_f64 v[4:5], v[110:111], v[98:99]
	ds_write2_b64 v233, v[20:21], v[18:19] offset1:1
	v_add_f64 v[18:19], v[106:107], v[102:103]
	ds_write2_b64 v233, v[12:13], v[6:7] offset0:2 offset1:3
	v_add_f64 v[12:13], v[94:95], v[90:91]
	ds_write2_b64 v233, v[8:9], v[14:15] offset0:4 offset1:5
	v_add_f64 v[8:9], v[18:19], v[4:5]
	v_add_f64 v[6:7], v[104:105], -v[108:109]
	v_add_f64 v[14:15], v[18:19], -v[4:5]
	;; [unrolled: 1-line block ×4, first 2 shown]
	v_add_f64 v[8:9], v[12:13], v[8:9]
	v_add_f64 v[12:13], v[96:97], -v[92:93]
	v_add_f64 v[10:11], v[10:11], -v[16:17]
	;; [unrolled: 1-line block ×3, first 2 shown]
	v_add_f64 v[20:21], v[12:13], v[6:7]
	v_add_f64 v[22:23], v[12:13], -v[6:7]
	v_add_f64 v[12:13], v[16:17], -v[12:13]
	;; [unrolled: 1-line block ×3, first 2 shown]
	v_add_f64 v[16:17], v[20:21], v[16:17]
	v_add_f64 v[20:21], v[86:87], v[8:9]
	v_mov_b64_e32 v[24:25], v[20:21]
	v_fmac_f64_e32 v[24:25], s[2:3], v[8:9]
	v_mul_f64 v[4:5], v[4:5], s[12:13]
	v_mul_f64 v[8:9], v[18:19], s[6:7]
	v_fma_f64 v[8:9], v[14:15], s[10:11], -v[8:9]
	v_fma_f64 v[14:15], v[14:15], s[14:15], -v[4:5]
	v_fmac_f64_e32 v[4:5], s[6:7], v[18:19]
	v_mul_f64 v[18:19], v[22:23], s[22:23]
	v_mul_f64 v[22:23], v[6:7], s[18:19]
	v_fma_f64 v[6:7], v[6:7], s[18:19], -v[18:19]
	v_fmac_f64_e32 v[18:19], s[16:17], v[12:13]
	v_fma_f64 v[12:13], v[12:13], s[24:25], -v[22:23]
	v_add_f64 v[8:9], v[8:9], v[24:25]
	v_add_f64 v[14:15], v[14:15], v[24:25]
	v_fmac_f64_e32 v[6:7], s[20:21], v[16:17]
	v_fmac_f64_e32 v[12:13], s[20:21], v[16:17]
	;; [unrolled: 1-line block ×3, first 2 shown]
	v_add_f64 v[16:17], v[8:9], -v[6:7]
	v_add_f64 v[6:7], v[6:7], v[8:9]
	v_add_f64 v[8:9], v[12:13], v[14:15]
	v_mad_i32_i24 v234, v249, 56, 0
	v_add_f64 v[12:13], v[14:15], -v[12:13]
	ds_write_b64 v233, v[10:11] offset:48
	s_waitcnt vmcnt(0)
	v_add_f64 v[10:11], v[76:77], v[64:65]
	ds_write2_b64 v234, v[8:9], v[16:17] offset0:2 offset1:3
	v_add_f64 v[8:9], v[60:61], v[56:57]
	v_add_f64 v[4:5], v[4:5], v[24:25]
	v_add_f64 v[16:17], v[52:53], v[28:29]
	ds_write2_b64 v234, v[6:7], v[12:13] offset0:4 offset1:5
	v_add_f64 v[6:7], v[8:9], v[10:11]
	v_add_f64 v[14:15], v[18:19], v[4:5]
	v_add_f64 v[4:5], v[4:5], -v[18:19]
	v_add_f64 v[12:13], v[8:9], -v[10:11]
	;; [unrolled: 1-line block ×4, first 2 shown]
	v_add_f64 v[6:7], v[16:17], v[6:7]
	v_add_f64 v[16:17], v[58:59], -v[62:63]
	v_add_f64 v[18:19], v[54:55], -v[30:31]
	ds_write2_b64 v234, v[20:21], v[14:15] offset1:1
	v_add_f64 v[14:15], v[66:67], -v[78:79]
	v_add_f64 v[20:21], v[18:19], v[16:17]
	v_add_f64 v[0:1], v[0:1], v[6:7]
	v_add_f64 v[22:23], v[18:19], -v[16:17]
	v_add_f64 v[18:19], v[14:15], -v[18:19]
	;; [unrolled: 1-line block ×3, first 2 shown]
	v_add_f64 v[14:15], v[20:21], v[14:15]
	v_mov_b64_e32 v[20:21], v[0:1]
	v_fmac_f64_e32 v[20:21], s[2:3], v[6:7]
	ds_write_b64 v234, v[4:5] offset:48
	v_mul_f64 v[4:5], v[10:11], s[12:13]
	v_mul_f64 v[6:7], v[22:23], s[22:23]
	v_fma_f64 v[10:11], v[12:13], s[14:15], -v[4:5]
	v_fmac_f64_e32 v[4:5], s[6:7], v[8:9]
	v_fma_f64 v[22:23], v[16:17], s[18:19], -v[6:7]
	v_fmac_f64_e32 v[6:7], s[16:17], v[18:19]
	v_add_f64 v[4:5], v[4:5], v[20:21]
	v_fmac_f64_e32 v[6:7], s[20:21], v[14:15]
	v_accvgpr_read_b32 v27, a5
	v_mad_i32_i24 v26, v27, 56, 0
	v_add_f64 v[24:25], v[6:7], v[4:5]
	ds_write2_b64 v26, v[0:1], v[24:25] offset1:1
	v_mul_f64 v[0:1], v[8:9], s[6:7]
	v_mul_f64 v[8:9], v[16:17], s[18:19]
	v_fma_f64 v[0:1], v[12:13], s[10:11], -v[0:1]
	v_fma_f64 v[8:9], v[18:19], s[24:25], -v[8:9]
	v_add_f64 v[0:1], v[0:1], v[20:21]
	v_add_f64 v[10:11], v[10:11], v[20:21]
	v_fmac_f64_e32 v[22:23], s[20:21], v[14:15]
	v_fmac_f64_e32 v[8:9], s[20:21], v[14:15]
	v_add_f64 v[12:13], v[0:1], -v[22:23]
	v_add_f64 v[0:1], v[22:23], v[0:1]
	v_add_f64 v[14:15], v[8:9], v[10:11]
	s_movk_i32 s28, 0xffd0
	v_add_f64 v[226:227], v[10:11], -v[8:9]
	v_add_f64 v[20:21], v[4:5], -v[6:7]
	ds_write2_b64 v26, v[14:15], v[12:13] offset0:2 offset1:3
	ds_write2_b64 v26, v[0:1], v[226:227] offset0:4 offset1:5
	ds_write_b64 v26, v[20:21] offset:48
	v_mad_i32_i24 v230, v228, s28, v232
	v_mad_i32_i24 v1, v229, s28, v233
	s_waitcnt lgkmcnt(0)
	; wave barrier
	s_waitcnt lgkmcnt(0)
	v_add_u32_e32 v238, 0x800, v230
	v_add_u32_e32 v239, 0xc00, v230
	;; [unrolled: 1-line block ×8, first 2 shown]
	v_mad_i32_i24 v0, v248, s28, v231
	v_add_u32_e32 v243, 0x400, v230
	v_add_u32_e32 v242, 0x3000, v230
	ds_read_b64 v[218:219], v1
	ds_read_b64 v[220:221], v0
	ds_read_b64 v[222:223], v230 offset:14880
	ds_read2_b64 v[4:7], v230 offset1:175
	ds_read2_b64 v[212:215], v238 offset0:94 offset1:149
	ds_read2_b64 v[72:75], v239 offset0:76 offset1:141
	;; [unrolled: 1-line block ×12, first 2 shown]
	ds_read2_b64 v[44:47], v237 offset1:55
	ds_read2_b64 v[32:35], v242 offset0:94 offset1:149
	v_mul_i32_i24_e32 v247, 56, v27
	v_cmp_gt_u32_e64 s[0:1], 10, v228
	v_mul_i32_i24_e32 v246, 0xffffffd0, v248
	v_mul_i32_i24_e32 v245, 0xffffffd0, v229
                                        ; implicit-def: $vgpr10_vgpr11
                                        ; implicit-def: $vgpr14_vgpr15
                                        ; implicit-def: $vgpr18_vgpr19
                                        ; implicit-def: $vgpr26_vgpr27
	s_and_saveexec_b64 s[26:27], s[0:1]
	s_cbranch_execz .LBB0_15
; %bb.14:
	v_mad_i32_i24 v0, v249, s28, v234
	ds_read_b64 v[226:227], v0
	v_add_u32_e32 v0, 0xa00, v230
	ds_read2_b64 v[20:23], v0 offset0:20 offset1:195
	v_add_u32_e32 v0, 0x1400, v230
	ds_read2_b64 v[24:27], v0 offset0:50 offset1:225
	ds_read2_b64 v[16:19], v240 offset0:16 offset1:191
	v_add_u32_e32 v0, 0x2a00, v230
	ds_read2_b64 v[12:15], v0 offset0:46 offset1:221
	ds_read2_b64 v[8:11], v244 offset0:76 offset1:251
.LBB0_15:
	s_or_b64 exec, exec, s[26:27]
	v_add_f64 v[0:1], v[206:207], v[202:203]
	v_add_f64 v[180:181], v[198:199], v[194:195]
	v_add_f64 v[182:183], v[192:193], -v[196:197]
	v_add_f64 v[186:187], v[190:191], v[186:187]
	v_add_f64 v[184:185], v[188:189], -v[184:185]
	v_add_f64 v[188:189], v[180:181], v[0:1]
	v_add_f64 v[166:167], v[178:179], v[166:167]
	;; [unrolled: 1-line block ×9, first 2 shown]
	v_add_f64 v[114:115], v[200:201], -v[204:205]
	v_add_f64 v[190:191], v[180:181], -v[0:1]
	;; [unrolled: 1-line block ×4, first 2 shown]
	v_add_f64 v[0:1], v[184:185], v[182:183]
	v_add_f64 v[186:187], v[186:187], v[188:189]
	;; [unrolled: 1-line block ×3, first 2 shown]
	v_add_f64 v[152:153], v[156:157], -v[152:153]
	v_add_f64 v[156:157], v[162:163], v[166:167]
	v_add_f64 v[120:121], v[132:133], v[120:121]
	v_add_f64 v[118:119], v[130:131], -v[118:119]
	v_add_f64 v[130:131], v[124:125], v[128:129]
	v_add_f64 v[92:93], v[96:97], v[92:93]
	v_add_f64 v[90:91], v[94:95], -v[90:91]
	v_add_f64 v[94:95], v[104:105], v[100:101]
	v_add_f64 v[30:31], v[54:55], v[30:31]
	v_add_f64 v[28:29], v[52:53], -v[28:29]
	v_add_f64 v[52:53], v[58:59], v[66:67]
	v_add_f64 v[194:195], v[184:185], -v[182:183]
	v_add_f64 v[184:185], v[114:115], -v[184:185]
	;; [unrolled: 1-line block ×3, first 2 shown]
	v_add_f64 v[114:115], v[0:1], v[114:115]
	v_add_f64 v[0:1], v[224:225], v[186:187]
	v_add_f64 v[164:165], v[164:165], -v[176:177]
	v_add_f64 v[160:161], v[160:161], -v[172:173]
	v_add_f64 v[158:159], v[162:163], -v[166:167]
	v_add_f64 v[166:167], v[166:167], -v[154:155]
	v_add_f64 v[162:163], v[154:155], -v[162:163]
	v_add_f64 v[154:155], v[154:155], v[156:157]
	v_add_f64 v[126:127], v[126:127], -v[138:139]
	v_add_f64 v[122:123], v[122:123], -v[134:135]
	v_add_f64 v[132:133], v[124:125], -v[128:129]
	v_add_f64 v[128:129], v[128:129], -v[120:121]
	v_add_f64 v[124:125], v[120:121], -v[124:125]
	;; [unrolled: 6-line block ×3, first 2 shown]
	v_add_f64 v[92:93], v[92:93], v[94:95]
	v_add_f64 v[56:57], v[56:57], -v[60:61]
	v_add_f64 v[54:55], v[58:59], -v[66:67]
	;; [unrolled: 1-line block ×4, first 2 shown]
	v_add_f64 v[30:31], v[30:31], v[52:53]
	v_mul_f64 v[188:189], v[192:193], s[12:13]
	v_mul_f64 v[192:193], v[180:181], s[6:7]
	;; [unrolled: 1-line block ×3, first 2 shown]
	v_mov_b64_e32 v[198:199], v[0:1]
	v_add_f64 v[172:173], v[152:153], v[160:161]
	v_add_f64 v[174:175], v[152:153], -v[160:161]
	v_add_f64 v[160:161], v[160:161], -v[164:165]
	v_add_f64 v[146:147], v[146:147], v[154:155]
	v_add_f64 v[134:135], v[118:119], v[122:123]
	v_add_f64 v[136:137], v[118:119], -v[122:123]
	v_add_f64 v[122:123], v[122:123], -v[126:127]
	v_add_f64 v[116:117], v[116:117], v[120:121]
	;; [unrolled: 4-line block ×3, first 2 shown]
	v_add_f64 v[64:65], v[64:65], -v[76:77]
	v_add_f64 v[62:63], v[28:29], v[56:57]
	v_add_f64 v[66:67], v[28:29], -v[56:57]
	v_add_f64 v[2:3], v[2:3], v[30:31]
	v_mul_f64 v[196:197], v[182:183], s[18:19]
	v_fmac_f64_e32 v[198:199], s[2:3], v[186:187]
	v_fma_f64 v[186:187], v[190:191], s[10:11], -v[192:193]
	v_fma_f64 v[190:191], v[190:191], s[14:15], -v[188:189]
	v_fmac_f64_e32 v[188:189], s[6:7], v[180:181]
	v_fma_f64 v[180:181], v[182:183], s[18:19], -v[194:195]
	v_fmac_f64_e32 v[194:195], s[16:17], v[184:185]
	v_add_f64 v[152:153], v[164:165], -v[152:153]
	v_add_f64 v[156:157], v[172:173], v[164:165]
	v_mul_f64 v[164:165], v[166:167], s[12:13]
	v_mul_f64 v[166:167], v[162:163], s[6:7]
	v_mul_f64 v[172:173], v[174:175], s[22:23]
	v_mul_f64 v[174:175], v[160:161], s[18:19]
	v_mov_b64_e32 v[176:177], v[146:147]
	v_add_f64 v[118:119], v[126:127], -v[118:119]
	v_add_f64 v[126:127], v[134:135], v[126:127]
	v_mul_f64 v[128:129], v[128:129], s[12:13]
	v_mul_f64 v[130:131], v[124:125], s[6:7]
	v_mul_f64 v[134:135], v[136:137], s[22:23]
	v_mul_f64 v[136:137], v[122:123], s[18:19]
	v_mov_b64_e32 v[138:139], v[116:117]
	;; [unrolled: 7-line block ×3, first 2 shown]
	v_add_f64 v[28:29], v[64:65], -v[28:29]
	v_add_f64 v[56:57], v[56:57], -v[64:65]
	v_add_f64 v[52:53], v[62:63], v[64:65]
	v_mul_f64 v[60:61], v[60:61], s[12:13]
	v_mul_f64 v[62:63], v[58:59], s[6:7]
	v_mul_f64 v[64:65], v[66:67], s[22:23]
	v_mov_b64_e32 v[76:77], v[2:3]
	v_fma_f64 v[182:183], v[184:185], s[24:25], -v[196:197]
	v_add_f64 v[184:185], v[188:189], v[198:199]
	v_fmac_f64_e32 v[194:195], s[20:21], v[114:115]
	v_fmac_f64_e32 v[176:177], s[2:3], v[154:155]
	v_fma_f64 v[154:155], v[158:159], s[10:11], -v[166:167]
	v_fma_f64 v[158:159], v[158:159], s[14:15], -v[164:165]
	v_fmac_f64_e32 v[164:165], s[6:7], v[162:163]
	v_fma_f64 v[160:161], v[160:161], s[18:19], -v[172:173]
	v_fmac_f64_e32 v[172:173], s[16:17], v[152:153]
	v_fma_f64 v[152:153], v[152:153], s[24:25], -v[174:175]
	v_fmac_f64_e32 v[138:139], s[2:3], v[120:121]
	v_fma_f64 v[120:121], v[132:133], s[10:11], -v[130:131]
	v_fma_f64 v[130:131], v[132:133], s[14:15], -v[128:129]
	v_fmac_f64_e32 v[128:129], s[6:7], v[124:125]
	v_fma_f64 v[122:123], v[122:123], s[18:19], -v[134:135]
	v_fmac_f64_e32 v[134:135], s[16:17], v[118:119]
	v_fma_f64 v[118:119], v[118:119], s[24:25], -v[136:137]
	;; [unrolled: 7-line block ×3, first 2 shown]
	v_mul_f64 v[66:67], v[56:57], s[18:19]
	v_fmac_f64_e32 v[76:77], s[2:3], v[30:31]
	v_fma_f64 v[30:31], v[54:55], s[10:11], -v[62:63]
	v_fma_f64 v[54:55], v[54:55], s[14:15], -v[60:61]
	v_fmac_f64_e32 v[60:61], s[6:7], v[58:59]
	v_fma_f64 v[56:57], v[56:57], s[18:19], -v[64:65]
	v_fmac_f64_e32 v[64:65], s[16:17], v[28:29]
	v_add_f64 v[186:187], v[186:187], v[198:199]
	v_add_f64 v[188:189], v[190:191], v[198:199]
	v_fmac_f64_e32 v[180:181], s[20:21], v[114:115]
	v_fmac_f64_e32 v[182:183], s[20:21], v[114:115]
	v_add_f64 v[190:191], v[184:185], -v[194:195]
	v_add_f64 v[162:163], v[164:165], v[176:177]
	v_add_f64 v[154:155], v[154:155], v[176:177]
	v_add_f64 v[158:159], v[158:159], v[176:177]
	v_fmac_f64_e32 v[172:173], s[20:21], v[156:157]
	v_fmac_f64_e32 v[160:161], s[20:21], v[156:157]
	v_fmac_f64_e32 v[152:153], s[20:21], v[156:157]
	v_add_f64 v[124:125], v[128:129], v[138:139]
	v_add_f64 v[120:121], v[120:121], v[138:139]
	v_add_f64 v[128:129], v[130:131], v[138:139]
	v_fmac_f64_e32 v[134:135], s[20:21], v[126:127]
	v_fmac_f64_e32 v[122:123], s[20:21], v[126:127]
	v_fmac_f64_e32 v[118:119], s[20:21], v[126:127]
	;; [unrolled: 6-line block ×3, first 2 shown]
	v_fma_f64 v[28:29], v[28:29], s[24:25], -v[66:67]
	v_add_f64 v[58:59], v[60:61], v[76:77]
	v_fmac_f64_e32 v[64:65], s[20:21], v[52:53]
	v_add_f64 v[114:115], v[188:189], -v[182:183]
	v_add_f64 v[192:193], v[180:181], v[186:187]
	v_add_f64 v[180:181], v[186:187], -v[180:181]
	v_add_f64 v[182:183], v[182:183], v[188:189]
	v_add_f64 v[184:185], v[194:195], v[184:185]
	v_add_f64 v[156:157], v[162:163], -v[172:173]
	v_add_f64 v[164:165], v[158:159], -v[152:153]
	v_add_f64 v[166:167], v[160:161], v[154:155]
	v_add_f64 v[154:155], v[154:155], -v[160:161]
	v_add_f64 v[152:153], v[152:153], v[158:159]
	v_add_f64 v[158:159], v[172:173], v[162:163]
	v_add_f64 v[126:127], v[124:125], -v[134:135]
	;; [unrolled: 6-line block ×3, first 2 shown]
	v_add_f64 v[102:103], v[96:97], -v[90:91]
	v_add_f64 v[104:105], v[100:101], v[92:93]
	v_add_f64 v[92:93], v[92:93], -v[100:101]
	v_add_f64 v[90:91], v[90:91], v[96:97]
	v_add_f64 v[96:97], v[106:107], v[98:99]
	v_add_f64 v[30:31], v[30:31], v[76:77]
	v_add_f64 v[54:55], v[54:55], v[76:77]
	v_fmac_f64_e32 v[56:57], s[20:21], v[52:53]
	v_fmac_f64_e32 v[28:29], s[20:21], v[52:53]
	v_add_f64 v[52:53], v[58:59], -v[64:65]
	s_waitcnt lgkmcnt(0)
	; wave barrier
	s_waitcnt lgkmcnt(0)
	ds_write2_b64 v232, v[0:1], v[190:191] offset1:1
	ds_write2_b64 v232, v[114:115], v[192:193] offset0:2 offset1:3
	ds_write2_b64 v232, v[180:181], v[182:183] offset0:4 offset1:5
	ds_write_b64 v232, v[184:185] offset:48
	ds_write2_b64 v231, v[146:147], v[156:157] offset1:1
	ds_write2_b64 v231, v[164:165], v[166:167] offset0:2 offset1:3
	ds_write2_b64 v231, v[154:155], v[152:153] offset0:4 offset1:5
	ds_write_b64 v231, v[158:159] offset:48
	;; [unrolled: 4-line block ×4, first 2 shown]
	v_add_u32_e32 v0, 0, v247
	v_add_f64 v[62:63], v[54:55], -v[28:29]
	v_add_f64 v[66:67], v[56:57], v[30:31]
	v_add_f64 v[30:31], v[30:31], -v[56:57]
	v_add_f64 v[224:225], v[28:29], v[54:55]
	v_add_f64 v[60:61], v[64:65], v[58:59]
	ds_write2_b64 v0, v[2:3], v[52:53] offset1:1
	ds_write2_b64 v0, v[62:63], v[66:67] offset0:2 offset1:3
	ds_write2_b64 v0, v[30:31], v[224:225] offset0:4 offset1:5
	ds_write_b64 v0, v[60:61] offset:48
	s_waitcnt lgkmcnt(0)
	; wave barrier
	s_waitcnt lgkmcnt(0)
	ds_read2_b64 v[0:3], v230 offset1:175
	ds_read2_b64 v[136:139], v238 offset0:94 offset1:149
	ds_read2_b64 v[108:111], v239 offset0:76 offset1:141
	ds_read2_b64 v[132:135], v235 offset0:188 offset1:243
	ds_read2_b64 v[104:107], v236 offset0:42 offset1:107
	ds_read2_b64 v[128:131], v240 offset0:26 offset1:81
	ds_read2_b64 v[92:95], v240 offset0:136 offset1:201
	ds_read2_b64 v[124:127], v237 offset0:120 offset1:175
	ds_read2_b64 v[88:91], v241 offset0:102 offset1:167
	ds_read2_b64 v[120:123], v244 offset0:86 offset1:141
	ds_read2_b64 v[116:119], v243 offset0:102 offset1:157
	ds_read2_b64 v[112:115], v235 offset0:68 offset1:123
	ds_read2_b64 v[100:103], v236 offset0:162 offset1:217
	ds_read2_b64 v[96:99], v237 offset1:55
	ds_read2_b64 v[76:79], v242 offset0:94 offset1:149
	v_add_u32_e32 v28, v231, v246
	v_add_u32_e32 v29, v233, v245
	ds_read_b64 v[146:147], v29
	ds_read_b64 v[152:153], v28
	ds_read_b64 v[172:173], v230 offset:14880
	v_accvgpr_write_b32 a7, v28
	v_lshl_add_u32 v28, v249, 3, 0
	v_accvgpr_write_b32 a8, v29
	v_accvgpr_write_b32 a6, v28
                                        ; implicit-def: $vgpr30_vgpr31
                                        ; implicit-def: $vgpr54_vgpr55
                                        ; implicit-def: $vgpr58_vgpr59
                                        ; implicit-def: $vgpr66_vgpr67
	s_and_saveexec_b64 s[2:3], s[0:1]
	s_cbranch_execz .LBB0_17
; %bb.16:
	v_accvgpr_read_b32 v28, a6
	ds_read_b64 v[224:225], v28
	v_add_u32_e32 v28, 0xa00, v230
	ds_read2_b64 v[60:63], v28 offset0:20 offset1:195
	v_add_u32_e32 v28, 0x1400, v230
	ds_read2_b64 v[64:67], v28 offset0:50 offset1:225
	;; [unrolled: 2-line block ×5, first 2 shown]
.LBB0_17:
	s_or_b64 exec, exec, s[2:3]
	v_mov_b32_e32 v174, 37
	v_mul_lo_u16_sdwa v140, v228, v174 dst_sel:DWORD dst_unused:UNUSED_PAD src0_sel:BYTE_0 src1_sel:DWORD
	v_sub_u16_sdwa v141, v228, v140 dst_sel:DWORD dst_unused:UNUSED_PAD src0_sel:DWORD src1_sel:BYTE_1
	v_lshrrev_b16_e32 v141, 1, v141
	v_and_b32_e32 v141, 0x7f, v141
	v_add_u16_sdwa v140, v141, v140 dst_sel:DWORD dst_unused:UNUSED_PAD src0_sel:DWORD src1_sel:BYTE_1
	v_lshrrev_b16_e32 v232, 2, v140
	v_mul_lo_u16_e32 v140, 7, v232
	v_sub_u16_e32 v233, v228, v140
	v_mov_b32_e32 v175, 10
	v_mul_u32_u24_sdwa v140, v233, v175 dst_sel:DWORD dst_unused:UNUSED_PAD src0_sel:BYTE_0 src1_sel:DWORD
	v_lshlrev_b32_e32 v180, 4, v140
	global_load_dwordx4 v[176:179], v180, s[4:5] offset:48
	global_load_dwordx4 v[182:185], v180, s[4:5] offset:32
	;; [unrolled: 1-line block ×3, first 2 shown]
	global_load_dwordx4 v[158:161], v180, s[4:5]
	s_mov_b32 s14, 0xf8bb580b
	s_mov_b32 s24, 0x8eee2c13
	;; [unrolled: 1-line block ×28, first 2 shown]
	v_accvgpr_write_b32 a0, v228
	v_accvgpr_write_b32 a2, v229
	;; [unrolled: 1-line block ×4, first 2 shown]
	s_waitcnt vmcnt(0)
	v_mul_f64 v[164:165], v[6:7], v[160:161]
	s_waitcnt lgkmcnt(14)
	v_mul_f64 v[140:141], v[2:3], v[160:161]
	v_fmac_f64_e32 v[164:165], v[2:3], v[158:159]
	v_mul_f64 v[2:3], v[136:137], v[156:157]
	v_fma_f64 v[162:163], v[6:7], v[158:159], -v[140:141]
	v_fma_f64 v[158:159], v[212:213], v[154:155], -v[2:3]
	v_mul_f64 v[160:161], v[212:213], v[156:157]
	v_mul_f64 v[2:3], v[110:111], v[184:185]
	v_fmac_f64_e32 v[160:161], v[136:137], v[154:155]
	v_fma_f64 v[154:155], v[74:75], v[182:183], -v[2:3]
	v_mul_f64 v[156:157], v[74:75], v[184:185]
	v_mul_f64 v[2:3], v[132:133], v[178:179]
	;; [unrolled: 1-line block ×3, first 2 shown]
	v_fmac_f64_e32 v[156:157], v[110:111], v[182:183]
	v_fma_f64 v[110:111], v[208:209], v[176:177], -v[2:3]
	v_fmac_f64_e32 v[136:137], v[132:133], v[176:177]
	global_load_dwordx4 v[176:179], v180, s[4:5] offset:112
	global_load_dwordx4 v[182:185], v180, s[4:5] offset:96
	;; [unrolled: 1-line block ×4, first 2 shown]
	s_waitcnt vmcnt(1)
	v_mul_f64 v[74:75], v[168:169], v[188:189]
	s_waitcnt vmcnt(0)
	v_mul_f64 v[6:7], v[70:71], v[192:193]
	s_waitcnt lgkmcnt(13)
	v_mul_f64 v[2:3], v[106:107], v[192:193]
	v_fmac_f64_e32 v[6:7], v[106:107], v[190:191]
	s_waitcnt lgkmcnt(11)
	v_mul_f64 v[106:107], v[94:95], v[184:185]
	v_fma_f64 v[106:107], v[42:43], v[182:183], -v[106:107]
	v_mul_f64 v[42:43], v[42:43], v[184:185]
	v_fma_f64 v[2:3], v[70:71], v[190:191], -v[2:3]
	v_mul_f64 v[70:71], v[128:129], v[188:189]
	v_fmac_f64_e32 v[74:75], v[128:129], v[186:187]
	v_fmac_f64_e32 v[42:43], v[94:95], v[182:183]
	s_waitcnt lgkmcnt(10)
	v_mul_f64 v[94:95], v[124:125], v[178:179]
	v_mul_f64 v[128:129], v[148:149], v[178:179]
	v_fma_f64 v[70:71], v[168:169], v[186:187], -v[70:71]
	v_fma_f64 v[94:95], v[148:149], v[176:177], -v[94:95]
	v_fmac_f64_e32 v[128:129], v[124:125], v[176:177]
	global_load_dwordx4 v[166:169], v180, s[4:5] offset:144
	global_load_dwordx4 v[176:179], v180, s[4:5] offset:128
	s_waitcnt vmcnt(1)
	v_mul_f64 v[132:133], v[142:143], v[168:169]
	s_waitcnt vmcnt(0) lgkmcnt(9)
	v_mul_f64 v[124:125], v[90:91], v[178:179]
	v_fma_f64 v[124:125], v[38:39], v[176:177], -v[124:125]
	v_mul_f64 v[38:39], v[38:39], v[178:179]
	v_fmac_f64_e32 v[38:39], v[90:91], v[176:177]
	s_waitcnt lgkmcnt(8)
	v_mul_f64 v[90:91], v[120:121], v[168:169]
	v_fmac_f64_e32 v[132:133], v[120:121], v[166:167]
	v_mul_lo_u16_sdwa v120, v248, v174 dst_sel:DWORD dst_unused:UNUSED_PAD src0_sel:BYTE_0 src1_sel:DWORD
	v_sub_u16_sdwa v121, v248, v120 dst_sel:DWORD dst_unused:UNUSED_PAD src0_sel:DWORD src1_sel:BYTE_1
	v_lshrrev_b16_e32 v121, 1, v121
	v_and_b32_e32 v121, 0x7f, v121
	v_add_u16_sdwa v120, v121, v120 dst_sel:DWORD dst_unused:UNUSED_PAD src0_sel:DWORD src1_sel:BYTE_1
	v_lshrrev_b16_e32 v208, 2, v120
	v_mul_lo_u16_e32 v120, 7, v208
	v_sub_u16_e32 v209, v248, v120
	v_mul_u32_u24_sdwa v120, v209, v175 dst_sel:DWORD dst_unused:UNUSED_PAD src0_sel:BYTE_0 src1_sel:DWORD
	v_lshlrev_b32_e32 v140, 4, v120
	global_load_dwordx4 v[176:179], v140, s[4:5] offset:48
	global_load_dwordx4 v[182:185], v140, s[4:5] offset:32
	;; [unrolled: 1-line block ×3, first 2 shown]
	global_load_dwordx4 v[190:193], v140, s[4:5]
	v_fma_f64 v[90:91], v[142:143], v[166:167], -v[90:91]
	s_waitcnt vmcnt(1)
	v_mul_f64 v[148:149], v[214:215], v[188:189]
	s_waitcnt vmcnt(0) lgkmcnt(7)
	v_mul_f64 v[120:121], v[116:117], v[192:193]
	v_fma_f64 v[166:167], v[84:85], v[190:191], -v[120:121]
	v_mul_f64 v[168:169], v[84:85], v[192:193]
	v_mul_f64 v[84:85], v[138:139], v[188:189]
	v_fma_f64 v[142:143], v[214:215], v[186:187], -v[84:85]
	s_waitcnt lgkmcnt(6)
	v_mul_f64 v[84:85], v[112:113], v[184:185]
	v_fmac_f64_e32 v[168:169], v[116:117], v[190:191]
	v_fma_f64 v[116:117], v[80:81], v[182:183], -v[84:85]
	v_mul_f64 v[120:121], v[80:81], v[184:185]
	v_mul_f64 v[80:81], v[134:135], v[178:179]
	;; [unrolled: 1-line block ×3, first 2 shown]
	v_fmac_f64_e32 v[148:149], v[138:139], v[186:187]
	v_fmac_f64_e32 v[120:121], v[112:113], v[182:183]
	v_fma_f64 v[80:81], v[210:211], v[176:177], -v[80:81]
	v_fmac_f64_e32 v[84:85], v[134:135], v[176:177]
	global_load_dwordx4 v[176:179], v140, s[4:5] offset:112
	global_load_dwordx4 v[182:185], v140, s[4:5] offset:96
	;; [unrolled: 1-line block ×4, first 2 shown]
	s_waitcnt vmcnt(3)
	v_mul_f64 v[138:139], v[150:151], v[178:179]
	v_fmac_f64_e32 v[138:139], v[126:127], v[176:177]
	s_waitcnt vmcnt(1)
	v_mul_f64 v[134:135], v[170:171], v[188:189]
	s_waitcnt vmcnt(0) lgkmcnt(5)
	v_mul_f64 v[112:113], v[100:101], v[192:193]
	v_fma_f64 v[112:113], v[48:49], v[190:191], -v[112:113]
	v_mul_f64 v[48:49], v[48:49], v[192:193]
	v_fmac_f64_e32 v[48:49], v[100:101], v[190:191]
	v_mul_f64 v[100:101], v[130:131], v[188:189]
	v_fmac_f64_e32 v[134:135], v[130:131], v[186:187]
	s_waitcnt lgkmcnt(4)
	v_mul_f64 v[130:131], v[96:97], v[184:185]
	v_fma_f64 v[130:131], v[44:45], v[182:183], -v[130:131]
	v_mul_f64 v[44:45], v[44:45], v[184:185]
	v_fmac_f64_e32 v[44:45], v[96:97], v[182:183]
	v_mul_f64 v[96:97], v[126:127], v[178:179]
	v_fma_f64 v[96:97], v[150:151], v[176:177], -v[96:97]
	global_load_dwordx4 v[176:179], v140, s[4:5] offset:144
	global_load_dwordx4 v[182:185], v140, s[4:5] offset:128
	v_fma_f64 v[100:101], v[170:171], v[186:187], -v[100:101]
	v_add_f64 v[236:237], v[48:49], -v[134:135]
	s_waitcnt vmcnt(0) lgkmcnt(3)
	v_mul_f64 v[126:127], v[76:77], v[184:185]
	v_fma_f64 v[126:127], v[32:33], v[182:183], -v[126:127]
	v_mul_f64 v[32:33], v[32:33], v[184:185]
	v_fmac_f64_e32 v[32:33], v[76:77], v[182:183]
	v_mul_f64 v[76:77], v[122:123], v[178:179]
	v_fma_f64 v[150:151], v[144:145], v[176:177], -v[76:77]
	v_mul_lo_u16_sdwa v76, v229, v174 dst_sel:DWORD dst_unused:UNUSED_PAD src0_sel:BYTE_0 src1_sel:DWORD
	v_sub_u16_sdwa v77, v229, v76 dst_sel:DWORD dst_unused:UNUSED_PAD src0_sel:DWORD src1_sel:BYTE_1
	v_lshrrev_b16_e32 v77, 1, v77
	v_and_b32_e32 v77, 0x7f, v77
	v_add_u16_sdwa v76, v77, v76 dst_sel:DWORD dst_unused:UNUSED_PAD src0_sel:DWORD src1_sel:BYTE_1
	v_lshrrev_b16_e32 v212, 2, v76
	v_mul_lo_u16_e32 v76, 7, v212
	v_sub_u16_e32 v213, v229, v76
	v_mul_f64 v[144:145], v[144:145], v[178:179]
	v_mul_u32_u24_sdwa v76, v213, v175 dst_sel:DWORD dst_unused:UNUSED_PAD src0_sel:BYTE_0 src1_sel:DWORD
	v_fmac_f64_e32 v[144:145], v[122:123], v[176:177]
	v_lshlrev_b32_e32 v176, 4, v76
	global_load_dwordx4 v[182:185], v176, s[4:5] offset:48
	global_load_dwordx4 v[186:189], v176, s[4:5] offset:32
	;; [unrolled: 1-line block ×3, first 2 shown]
	global_load_dwordx4 v[194:197], v176, s[4:5]
	s_waitcnt vmcnt(0)
	v_mul_f64 v[76:77], v[118:119], v[196:197]
	v_fma_f64 v[122:123], v[86:87], v[194:195], -v[76:77]
	v_mul_f64 v[170:171], v[86:87], v[196:197]
	v_mul_f64 v[76:77], v[108:109], v[192:193]
	v_fmac_f64_e32 v[170:171], v[118:119], v[194:195]
	v_fma_f64 v[86:87], v[72:73], v[190:191], -v[76:77]
	v_mul_f64 v[118:119], v[72:73], v[192:193]
	v_mul_f64 v[72:73], v[114:115], v[188:189]
	v_fma_f64 v[76:77], v[82:83], v[186:187], -v[72:73]
	v_mul_f64 v[72:73], v[104:105], v[184:185]
	v_mul_f64 v[82:83], v[82:83], v[188:189]
	v_fma_f64 v[72:73], v[68:69], v[182:183], -v[72:73]
	v_mul_f64 v[68:69], v[68:69], v[184:185]
	v_fmac_f64_e32 v[118:119], v[108:109], v[190:191]
	v_fmac_f64_e32 v[82:83], v[114:115], v[186:187]
	;; [unrolled: 1-line block ×3, first 2 shown]
	global_load_dwordx4 v[182:185], v176, s[4:5] offset:112
	global_load_dwordx4 v[186:189], v176, s[4:5] offset:96
	;; [unrolled: 1-line block ×4, first 2 shown]
	s_waitcnt vmcnt(0)
	v_mul_f64 v[104:105], v[102:103], v[196:197]
	v_fma_f64 v[104:105], v[50:51], v[194:195], -v[104:105]
	v_mul_f64 v[50:51], v[50:51], v[196:197]
	v_fmac_f64_e32 v[50:51], v[102:103], v[194:195]
	v_mul_f64 v[102:103], v[92:93], v[192:193]
	v_fma_f64 v[102:103], v[40:41], v[190:191], -v[102:103]
	v_mul_f64 v[40:41], v[40:41], v[192:193]
	v_fmac_f64_e32 v[40:41], v[92:93], v[190:191]
	;; [unrolled: 4-line block ×4, first 2 shown]
	global_load_dwordx4 v[182:185], v176, s[4:5] offset:144
	s_nop 0
	global_load_dwordx4 v[176:179], v176, s[4:5] offset:128
	s_waitcnt vmcnt(1)
	v_mul_f64 v[194:195], v[222:223], v[184:185]
	s_waitcnt vmcnt(0)
	v_mul_f64 v[88:89], v[78:79], v[178:179]
	v_fma_f64 v[190:191], v[34:35], v[176:177], -v[88:89]
	v_mul_f64 v[34:35], v[34:35], v[178:179]
	v_fmac_f64_e32 v[34:35], v[78:79], v[176:177]
	s_waitcnt lgkmcnt(0)
	v_mul_f64 v[78:79], v[172:173], v[184:185]
	v_fma_f64 v[192:193], v[222:223], v[182:183], -v[78:79]
	v_mul_lo_u16_sdwa v78, v249, v174 dst_sel:DWORD dst_unused:UNUSED_PAD src0_sel:BYTE_0 src1_sel:DWORD
	v_sub_u16_sdwa v79, v249, v78 dst_sel:DWORD dst_unused:UNUSED_PAD src0_sel:DWORD src1_sel:BYTE_1
	v_lshrrev_b16_e32 v79, 1, v79
	v_and_b32_e32 v79, 0x7f, v79
	v_add_u16_sdwa v78, v79, v78 dst_sel:DWORD dst_unused:UNUSED_PAD src0_sel:DWORD src1_sel:BYTE_1
	v_lshrrev_b16_e32 v210, 2, v78
	v_mul_lo_u16_e32 v78, 7, v210
	v_sub_u16_e32 v211, v249, v78
	v_mul_u32_u24_sdwa v78, v211, v175 dst_sel:DWORD dst_unused:UNUSED_PAD src0_sel:BYTE_0 src1_sel:DWORD
	v_lshlrev_b32_e32 v140, 4, v78
	v_fmac_f64_e32 v[194:195], v[172:173], v[182:183]
	global_load_dwordx4 v[172:175], v140, s[4:5] offset:48
	global_load_dwordx4 v[182:185], v140, s[4:5] offset:32
	;; [unrolled: 1-line block ×3, first 2 shown]
	global_load_dwordx4 v[196:199], v140, s[4:5]
	s_waitcnt vmcnt(2)
	v_mul_f64 v[88:89], v[24:25], v[184:185]
	s_waitcnt vmcnt(1)
	v_mul_f64 v[114:115], v[22:23], v[188:189]
	;; [unrolled: 2-line block ×3, first 2 shown]
	v_fma_f64 v[176:177], v[20:21], v[196:197], -v[78:79]
	v_mul_f64 v[178:179], v[20:21], v[198:199]
	v_mul_f64 v[20:21], v[62:63], v[188:189]
	v_fma_f64 v[108:109], v[22:23], v[186:187], -v[20:21]
	v_mul_f64 v[20:21], v[64:65], v[184:185]
	v_fmac_f64_e32 v[114:115], v[62:63], v[186:187]
	v_fma_f64 v[78:79], v[24:25], v[182:183], -v[20:21]
	v_mul_f64 v[20:21], v[66:67], v[174:175]
	v_mul_f64 v[62:63], v[26:27], v[174:175]
	v_fmac_f64_e32 v[178:179], v[60:61], v[196:197]
	v_fmac_f64_e32 v[88:89], v[64:65], v[182:183]
	v_fma_f64 v[60:61], v[26:27], v[172:173], -v[20:21]
	v_fmac_f64_e32 v[62:63], v[66:67], v[172:173]
	global_load_dwordx4 v[20:23], v140, s[4:5] offset:112
	global_load_dwordx4 v[24:27], v140, s[4:5] offset:96
	;; [unrolled: 1-line block ×4, first 2 shown]
	s_waitcnt vmcnt(2)
	v_mul_f64 v[222:223], v[12:13], v[26:27]
	v_fmac_f64_e32 v[222:223], v[52:53], v[24:25]
	s_waitcnt vmcnt(0)
	v_mul_f64 v[64:65], v[56:57], v[174:175]
	v_fma_f64 v[64:65], v[16:17], v[172:173], -v[64:65]
	v_mul_f64 v[66:67], v[16:17], v[174:175]
	v_mul_f64 v[16:17], v[58:59], v[184:185]
	v_fmac_f64_e32 v[66:67], v[56:57], v[172:173]
	v_fma_f64 v[172:173], v[18:19], v[182:183], -v[16:17]
	v_mul_f64 v[16:17], v[52:53], v[26:27]
	v_mul_f64 v[174:175], v[18:19], v[184:185]
	v_fma_f64 v[206:207], v[12:13], v[24:25], -v[16:17]
	v_mul_f64 v[12:13], v[54:55], v[22:23]
	v_fmac_f64_e32 v[174:175], v[58:59], v[182:183]
	v_fma_f64 v[182:183], v[14:15], v[20:21], -v[12:13]
	v_mul_f64 v[184:185], v[14:15], v[22:23]
	global_load_dwordx4 v[12:15], v140, s[4:5] offset:144
	global_load_dwordx4 v[16:19], v140, s[4:5] offset:128
	v_fmac_f64_e32 v[184:185], v[54:55], v[20:21]
	v_add_f64 v[56:57], v[6:7], -v[74:75]
	s_waitcnt lgkmcnt(0)
	; wave barrier
	s_waitcnt vmcnt(1)
	v_mul_f64 v[202:203], v[10:11], v[14:15]
	s_waitcnt vmcnt(0)
	v_mul_f64 v[20:21], v[28:29], v[18:19]
	v_fma_f64 v[196:197], v[8:9], v[16:17], -v[20:21]
	v_mul_f64 v[198:199], v[8:9], v[18:19]
	v_mul_f64 v[8:9], v[30:31], v[14:15]
	v_fma_f64 v[200:201], v[10:11], v[12:13], -v[8:9]
	v_fmac_f64_e32 v[202:203], v[30:31], v[12:13]
	v_add_f64 v[12:13], v[164:165], -v[132:133]
	v_add_f64 v[10:11], v[162:163], v[90:91]
	v_mul_f64 v[14:15], v[12:13], s[14:15]
	v_mul_f64 v[18:19], v[12:13], s[24:25]
	;; [unrolled: 1-line block ×5, first 2 shown]
	v_fmac_f64_e32 v[198:199], v[28:29], v[16:17]
	v_fma_f64 v[16:17], v[10:11], s[2:3], -v[14:15]
	v_fmac_f64_e32 v[14:15], s[2:3], v[10:11]
	v_fma_f64 v[20:21], v[10:11], s[6:7], -v[18:19]
	;; [unrolled: 2-line block ×5, first 2 shown]
	v_fmac_f64_e32 v[12:13], s[22:23], v[10:11]
	v_add_f64 v[8:9], v[4:5], v[162:163]
	v_add_f64 v[16:17], v[4:5], v[16:17]
	;; [unrolled: 1-line block ×11, first 2 shown]
	v_add_f64 v[12:13], v[160:161], -v[38:39]
	v_add_f64 v[10:11], v[158:159], v[124:125]
	v_mul_f64 v[52:53], v[12:13], s[24:25]
	v_fma_f64 v[54:55], v[10:11], s[6:7], -v[52:53]
	v_fmac_f64_e32 v[52:53], s[6:7], v[10:11]
	v_add_f64 v[14:15], v[52:53], v[14:15]
	v_mul_f64 v[52:53], v[12:13], s[16:17]
	v_add_f64 v[16:17], v[54:55], v[16:17]
	v_fma_f64 v[54:55], v[10:11], s[18:19], -v[52:53]
	v_fmac_f64_e32 v[52:53], s[18:19], v[10:11]
	v_add_f64 v[18:19], v[52:53], v[18:19]
	v_mul_f64 v[52:53], v[12:13], s[34:35]
	v_add_f64 v[20:21], v[54:55], v[20:21]
	;; [unrolled: 5-line block ×3, first 2 shown]
	v_fma_f64 v[54:55], v[10:11], s[12:13], -v[52:53]
	v_fmac_f64_e32 v[52:53], s[12:13], v[10:11]
	v_mul_f64 v[12:13], v[12:13], s[26:27]
	v_add_f64 v[26:27], v[52:53], v[26:27]
	v_fma_f64 v[52:53], v[10:11], s[2:3], -v[12:13]
	v_fmac_f64_e32 v[12:13], s[2:3], v[10:11]
	v_add_f64 v[4:5], v[12:13], v[4:5]
	v_add_f64 v[12:13], v[156:157], -v[128:129]
	v_add_f64 v[30:31], v[52:53], v[30:31]
	v_add_f64 v[10:11], v[154:155], v[94:95]
	v_mul_f64 v[52:53], v[12:13], s[10:11]
	v_add_f64 v[28:29], v[54:55], v[28:29]
	v_fma_f64 v[54:55], v[10:11], s[12:13], -v[52:53]
	v_fmac_f64_e32 v[52:53], s[12:13], v[10:11]
	v_add_f64 v[14:15], v[52:53], v[14:15]
	v_mul_f64 v[52:53], v[12:13], s[34:35]
	v_add_f64 v[16:17], v[54:55], v[16:17]
	v_fma_f64 v[54:55], v[10:11], s[22:23], -v[52:53]
	v_fmac_f64_e32 v[52:53], s[22:23], v[10:11]
	;; [unrolled: 5-line block ×4, first 2 shown]
	v_mul_f64 v[12:13], v[12:13], s[16:17]
	v_add_f64 v[26:27], v[52:53], v[26:27]
	v_fma_f64 v[52:53], v[10:11], s[18:19], -v[12:13]
	v_fmac_f64_e32 v[12:13], s[18:19], v[10:11]
	v_add_f64 v[4:5], v[12:13], v[4:5]
	v_add_f64 v[12:13], v[136:137], -v[42:43]
	v_add_f64 v[30:31], v[52:53], v[30:31]
	v_add_f64 v[10:11], v[110:111], v[106:107]
	v_mul_f64 v[52:53], v[12:13], s[16:17]
	v_add_f64 v[28:29], v[54:55], v[28:29]
	v_fma_f64 v[54:55], v[10:11], s[18:19], -v[52:53]
	v_fmac_f64_e32 v[52:53], s[18:19], v[10:11]
	v_add_f64 v[14:15], v[52:53], v[14:15]
	v_mul_f64 v[52:53], v[12:13], s[30:31]
	v_add_f64 v[16:17], v[54:55], v[16:17]
	v_fma_f64 v[54:55], v[10:11], s[12:13], -v[52:53]
	v_fmac_f64_e32 v[52:53], s[12:13], v[10:11]
	;; [unrolled: 5-line block ×4, first 2 shown]
	v_mul_f64 v[12:13], v[12:13], s[28:29]
	v_add_f64 v[26:27], v[52:53], v[26:27]
	v_fma_f64 v[52:53], v[10:11], s[6:7], -v[12:13]
	v_fmac_f64_e32 v[12:13], s[6:7], v[10:11]
	v_add_f64 v[28:29], v[54:55], v[28:29]
	v_add_f64 v[30:31], v[52:53], v[30:31]
	;; [unrolled: 1-line block ×4, first 2 shown]
	v_mul_f64 v[4:5], v[56:57], s[20:21]
	v_fma_f64 v[10:11], v[54:55], s[22:23], -v[4:5]
	v_fmac_f64_e32 v[4:5], s[22:23], v[54:55]
	v_add_f64 v[4:5], v[4:5], v[14:15]
	v_mul_f64 v[14:15], v[56:57], s[26:27]
	v_fma_f64 v[12:13], v[54:55], s[2:3], -v[14:15]
	v_fmac_f64_e32 v[14:15], s[2:3], v[54:55]
	v_add_f64 v[14:15], v[14:15], v[18:19]
	v_mul_f64 v[18:19], v[56:57], s[16:17]
	v_add_f64 v[10:11], v[10:11], v[16:17]
	v_fma_f64 v[16:17], v[54:55], s[18:19], -v[18:19]
	v_fmac_f64_e32 v[18:19], s[18:19], v[54:55]
	v_add_f64 v[18:19], v[18:19], v[22:23]
	v_mul_f64 v[22:23], v[56:57], s[28:29]
	v_add_f64 v[12:13], v[12:13], v[20:21]
	;; [unrolled: 5-line block ×3, first 2 shown]
	v_fma_f64 v[24:25], v[54:55], s[12:13], -v[26:27]
	v_fmac_f64_e32 v[26:27], s[12:13], v[54:55]
	v_add_f64 v[26:27], v[26:27], v[52:53]
	v_add_f64 v[52:53], v[168:169], -v[144:145]
	v_add_f64 v[24:25], v[24:25], v[30:31]
	v_add_f64 v[30:31], v[166:167], v[150:151]
	v_mul_f64 v[54:55], v[52:53], s[14:15]
	v_mul_f64 v[58:59], v[52:53], s[24:25]
	;; [unrolled: 1-line block ×5, first 2 shown]
	v_fma_f64 v[56:57], v[30:31], s[2:3], -v[54:55]
	v_fmac_f64_e32 v[54:55], s[2:3], v[30:31]
	v_fma_f64 v[140:141], v[30:31], s[6:7], -v[58:59]
	v_fmac_f64_e32 v[58:59], s[6:7], v[30:31]
	;; [unrolled: 2-line block ×5, first 2 shown]
	v_add_f64 v[20:21], v[20:21], v[28:29]
	v_add_f64 v[28:29], v[220:221], v[166:167]
	;; [unrolled: 1-line block ×12, first 2 shown]
	v_add_f64 v[220:221], v[148:149], -v[32:33]
	v_add_f64 v[52:53], v[142:143], v[126:127]
	v_mul_f64 v[228:229], v[220:221], s[24:25]
	v_fma_f64 v[234:235], v[52:53], s[6:7], -v[228:229]
	v_fmac_f64_e32 v[228:229], s[6:7], v[52:53]
	v_add_f64 v[54:55], v[228:229], v[54:55]
	v_mul_f64 v[228:229], v[220:221], s[16:17]
	v_add_f64 v[56:57], v[234:235], v[56:57]
	v_fma_f64 v[234:235], v[52:53], s[18:19], -v[228:229]
	v_fmac_f64_e32 v[228:229], s[18:19], v[52:53]
	v_add_f64 v[58:59], v[228:229], v[58:59]
	v_mul_f64 v[228:229], v[220:221], s[34:35]
	v_add_f64 v[140:141], v[234:235], v[140:141]
	;; [unrolled: 5-line block ×3, first 2 shown]
	v_fma_f64 v[234:235], v[52:53], s[12:13], -v[228:229]
	v_fmac_f64_e32 v[228:229], s[12:13], v[52:53]
	v_mul_f64 v[220:221], v[220:221], s[26:27]
	v_add_f64 v[188:189], v[228:229], v[188:189]
	v_fma_f64 v[228:229], v[52:53], s[2:3], -v[220:221]
	v_fmac_f64_e32 v[220:221], s[2:3], v[52:53]
	v_add_f64 v[30:31], v[220:221], v[30:31]
	v_add_f64 v[220:221], v[120:121], -v[138:139]
	v_add_f64 v[214:215], v[228:229], v[214:215]
	v_add_f64 v[52:53], v[116:117], v[96:97]
	v_mul_f64 v[228:229], v[220:221], s[10:11]
	v_add_f64 v[204:205], v[234:235], v[204:205]
	v_fma_f64 v[234:235], v[52:53], s[12:13], -v[228:229]
	v_fmac_f64_e32 v[228:229], s[12:13], v[52:53]
	v_add_f64 v[54:55], v[228:229], v[54:55]
	v_mul_f64 v[228:229], v[220:221], s[34:35]
	v_add_f64 v[56:57], v[234:235], v[56:57]
	v_fma_f64 v[234:235], v[52:53], s[22:23], -v[228:229]
	v_fmac_f64_e32 v[228:229], s[22:23], v[52:53]
	;; [unrolled: 5-line block ×4, first 2 shown]
	v_mul_f64 v[220:221], v[220:221], s[16:17]
	v_add_f64 v[188:189], v[228:229], v[188:189]
	v_fma_f64 v[228:229], v[52:53], s[18:19], -v[220:221]
	v_fmac_f64_e32 v[220:221], s[18:19], v[52:53]
	v_add_f64 v[30:31], v[220:221], v[30:31]
	v_add_f64 v[220:221], v[84:85], -v[44:45]
	v_add_f64 v[214:215], v[228:229], v[214:215]
	v_add_f64 v[52:53], v[80:81], v[130:131]
	v_mul_f64 v[228:229], v[220:221], s[16:17]
	v_add_f64 v[204:205], v[234:235], v[204:205]
	v_fma_f64 v[234:235], v[52:53], s[18:19], -v[228:229]
	v_fmac_f64_e32 v[228:229], s[18:19], v[52:53]
	v_add_f64 v[54:55], v[228:229], v[54:55]
	v_mul_f64 v[228:229], v[220:221], s[30:31]
	v_add_f64 v[56:57], v[234:235], v[56:57]
	v_fma_f64 v[234:235], v[52:53], s[12:13], -v[228:229]
	v_fmac_f64_e32 v[228:229], s[12:13], v[52:53]
	;; [unrolled: 5-line block ×3, first 2 shown]
	v_add_f64 v[180:181], v[228:229], v[180:181]
	v_mul_f64 v[228:229], v[220:221], s[20:21]
	v_add_f64 v[186:187], v[234:235], v[186:187]
	v_fma_f64 v[234:235], v[52:53], s[22:23], -v[228:229]
	v_add_f64 v[234:235], v[234:235], v[204:205]
	v_mul_f64 v[204:205], v[220:221], s[28:29]
	v_fmac_f64_e32 v[228:229], s[22:23], v[52:53]
	v_fma_f64 v[220:221], v[52:53], s[6:7], -v[204:205]
	v_fmac_f64_e32 v[204:205], s[6:7], v[52:53]
	v_add_f64 v[188:189], v[228:229], v[188:189]
	v_add_f64 v[214:215], v[220:221], v[214:215]
	;; [unrolled: 1-line block ×4, first 2 shown]
	v_mul_f64 v[30:31], v[236:237], s[20:21]
	v_fma_f64 v[52:53], v[228:229], s[22:23], -v[30:31]
	v_add_f64 v[52:53], v[52:53], v[56:57]
	v_fmac_f64_e32 v[30:31], s[22:23], v[228:229]
	v_mul_f64 v[56:57], v[236:237], s[26:27]
	v_add_f64 v[30:31], v[30:31], v[54:55]
	v_fma_f64 v[54:55], v[228:229], s[2:3], -v[56:57]
	v_add_f64 v[54:55], v[54:55], v[140:141]
	v_fmac_f64_e32 v[56:57], s[2:3], v[228:229]
	v_mul_f64 v[140:141], v[236:237], s[16:17]
	v_add_f64 v[56:57], v[56:57], v[58:59]
	v_fma_f64 v[58:59], v[228:229], s[18:19], -v[140:141]
	v_fmac_f64_e32 v[140:141], s[18:19], v[228:229]
	v_add_f64 v[204:205], v[140:141], v[180:181]
	v_mul_f64 v[140:141], v[236:237], s[28:29]
	v_add_f64 v[58:59], v[58:59], v[186:187]
	v_fma_f64 v[180:181], v[228:229], s[6:7], -v[140:141]
	v_fmac_f64_e32 v[140:141], s[6:7], v[228:229]
	v_mul_f64 v[186:187], v[236:237], s[10:11]
	v_add_f64 v[140:141], v[140:141], v[188:189]
	v_fma_f64 v[188:189], v[228:229], s[12:13], -v[186:187]
	v_add_f64 v[188:189], v[188:189], v[214:215]
	v_add_f64 v[214:215], v[218:219], v[122:123]
	;; [unrolled: 1-line block ×8, first 2 shown]
	v_fmac_f64_e32 v[186:187], s[12:13], v[228:229]
	v_add_f64 v[214:215], v[214:215], v[98:99]
	v_add_f64 v[186:187], v[186:187], v[220:221]
	;; [unrolled: 1-line block ×3, first 2 shown]
	v_add_f64 v[220:221], v[170:171], -v[194:195]
	v_add_f64 v[180:181], v[180:181], v[234:235]
	v_add_f64 v[228:229], v[214:215], v[192:193]
	;; [unrolled: 1-line block ×3, first 2 shown]
	v_mul_f64 v[234:235], v[220:221], s[14:15]
	v_mul_f64 v[238:239], v[220:221], s[24:25]
	;; [unrolled: 1-line block ×5, first 2 shown]
	v_fma_f64 v[250:251], v[214:215], s[22:23], -v[220:221]
	v_fmac_f64_e32 v[220:221], s[22:23], v[214:215]
	v_fma_f64 v[236:237], v[214:215], s[2:3], -v[234:235]
	v_fmac_f64_e32 v[234:235], s[2:3], v[214:215]
	;; [unrolled: 2-line block ×5, first 2 shown]
	v_add_f64 v[214:215], v[218:219], v[220:221]
	v_add_f64 v[220:221], v[118:119], -v[34:35]
	v_add_f64 v[236:237], v[218:219], v[236:237]
	v_add_f64 v[234:235], v[218:219], v[234:235]
	;; [unrolled: 1-line block ×10, first 2 shown]
	v_mul_f64 v[252:253], v[220:221], s[24:25]
	v_fma_f64 v[254:255], v[218:219], s[6:7], -v[252:253]
	v_fmac_f64_e32 v[252:253], s[6:7], v[218:219]
	v_add_f64 v[234:235], v[252:253], v[234:235]
	v_mul_f64 v[252:253], v[220:221], s[16:17]
	v_add_f64 v[236:237], v[254:255], v[236:237]
	v_fma_f64 v[254:255], v[218:219], s[18:19], -v[252:253]
	v_fmac_f64_e32 v[252:253], s[18:19], v[218:219]
	v_add_f64 v[238:239], v[252:253], v[238:239]
	v_mul_f64 v[252:253], v[220:221], s[34:35]
	v_add_f64 v[240:241], v[254:255], v[240:241]
	v_fma_f64 v[254:255], v[218:219], s[22:23], -v[252:253]
	v_fmac_f64_e32 v[252:253], s[22:23], v[218:219]
	v_add_f64 v[242:243], v[252:253], v[242:243]
	v_mul_f64 v[252:253], v[220:221], s[30:31]
	v_add_f64 v[244:245], v[254:255], v[244:245]
	v_fma_f64 v[254:255], v[218:219], s[12:13], -v[252:253]
	v_fmac_f64_e32 v[252:253], s[12:13], v[218:219]
	v_mul_f64 v[220:221], v[220:221], s[26:27]
	v_add_f64 v[246:247], v[252:253], v[246:247]
	v_fma_f64 v[252:253], v[218:219], s[2:3], -v[220:221]
	v_fmac_f64_e32 v[220:221], s[2:3], v[218:219]
	v_add_f64 v[214:215], v[220:221], v[214:215]
	v_add_f64 v[220:221], v[82:83], -v[36:37]
	v_add_f64 v[250:251], v[252:253], v[250:251]
	v_add_f64 v[218:219], v[76:77], v[98:99]
	v_mul_f64 v[252:253], v[220:221], s[10:11]
	v_add_f64 v[248:249], v[254:255], v[248:249]
	v_fma_f64 v[254:255], v[218:219], s[12:13], -v[252:253]
	v_fmac_f64_e32 v[252:253], s[12:13], v[218:219]
	v_add_f64 v[234:235], v[252:253], v[234:235]
	v_mul_f64 v[252:253], v[220:221], s[34:35]
	v_add_f64 v[236:237], v[254:255], v[236:237]
	v_fma_f64 v[254:255], v[218:219], s[22:23], -v[252:253]
	v_fmac_f64_e32 v[252:253], s[22:23], v[218:219]
	v_add_f64 v[238:239], v[252:253], v[238:239]
	v_mul_f64 v[252:253], v[220:221], s[28:29]
	v_add_f64 v[240:241], v[254:255], v[240:241]
	v_fma_f64 v[254:255], v[218:219], s[6:7], -v[252:253]
	v_fmac_f64_e32 v[252:253], s[6:7], v[218:219]
	v_add_f64 v[242:243], v[252:253], v[242:243]
	v_mul_f64 v[252:253], v[220:221], s[14:15]
	v_add_f64 v[244:245], v[254:255], v[244:245]
	v_fma_f64 v[254:255], v[218:219], s[2:3], -v[252:253]
	v_fmac_f64_e32 v[252:253], s[2:3], v[218:219]
	v_mul_f64 v[220:221], v[220:221], s[16:17]
	v_add_f64 v[246:247], v[252:253], v[246:247]
	v_fma_f64 v[252:253], v[218:219], s[18:19], -v[220:221]
	v_fmac_f64_e32 v[220:221], s[18:19], v[218:219]
	v_add_f64 v[214:215], v[220:221], v[214:215]
	v_add_f64 v[220:221], v[68:69], -v[46:47]
	v_add_f64 v[250:251], v[252:253], v[250:251]
	v_add_f64 v[218:219], v[72:73], v[92:93]
	v_mul_f64 v[252:253], v[220:221], s[16:17]
	v_add_f64 v[248:249], v[254:255], v[248:249]
	;; [unrolled: 27-line block ×3, first 2 shown]
	v_fma_f64 v[254:255], v[218:219], s[22:23], -v[252:253]
	v_fmac_f64_e32 v[252:253], s[22:23], v[218:219]
	v_add_f64 v[234:235], v[252:253], v[234:235]
	v_mul_f64 v[252:253], v[220:221], s[26:27]
	v_add_f64 v[8:9], v[8:9], v[158:159]
	v_add_f64 v[236:237], v[254:255], v[236:237]
	v_fma_f64 v[254:255], v[218:219], s[2:3], -v[252:253]
	v_fmac_f64_e32 v[252:253], s[2:3], v[218:219]
	v_add_f64 v[8:9], v[8:9], v[154:155]
	v_add_f64 v[238:239], v[252:253], v[238:239]
	v_mul_f64 v[252:253], v[220:221], s[16:17]
	v_add_f64 v[8:9], v[8:9], v[110:111]
	v_add_f64 v[240:241], v[254:255], v[240:241]
	v_fma_f64 v[254:255], v[218:219], s[18:19], -v[252:253]
	v_fmac_f64_e32 v[252:253], s[18:19], v[218:219]
	v_add_f64 v[8:9], v[8:9], v[2:3]
	v_add_f64 v[28:29], v[28:29], v[142:143]
	;; [unrolled: 1-line block ×3, first 2 shown]
	v_mul_f64 v[252:253], v[220:221], s[28:29]
	v_add_f64 v[8:9], v[8:9], v[70:71]
	v_add_f64 v[28:29], v[28:29], v[116:117]
	;; [unrolled: 1-line block ×3, first 2 shown]
	v_fma_f64 v[254:255], v[218:219], s[6:7], -v[252:253]
	v_fmac_f64_e32 v[252:253], s[6:7], v[218:219]
	v_mul_f64 v[220:221], v[220:221], s[10:11]
	v_add_f64 v[8:9], v[8:9], v[106:107]
	v_add_f64 v[28:29], v[28:29], v[80:81]
	;; [unrolled: 1-line block ×3, first 2 shown]
	v_fma_f64 v[252:253], v[218:219], s[12:13], -v[220:221]
	v_fmac_f64_e32 v[220:221], s[12:13], v[218:219]
	v_add_f64 v[8:9], v[8:9], v[94:95]
	v_add_f64 v[28:29], v[28:29], v[112:113]
	;; [unrolled: 1-line block ×4, first 2 shown]
	v_mov_b32_e32 v214, 3
	v_add_f64 v[8:9], v[8:9], v[124:125]
	v_add_f64 v[28:29], v[28:29], v[100:101]
	v_mul_u32_u24_e32 v215, 0x268, v232
	v_lshlrev_b32_sdwa v218, v214, v233 dst_sel:DWORD dst_unused:UNUSED_PAD src0_sel:DWORD src1_sel:BYTE_0
	v_add_f64 v[8:9], v[8:9], v[90:91]
	v_add_f64 v[28:29], v[28:29], v[130:131]
	v_add3_u32 v218, 0, v215, v218
	v_add_f64 v[28:29], v[28:29], v[96:97]
	ds_write2_b64 v218, v[8:9], v[10:11] offset1:7
	ds_write2_b64 v218, v[12:13], v[16:17] offset0:14 offset1:21
	ds_write2_b64 v218, v[20:21], v[24:25] offset0:28 offset1:35
	;; [unrolled: 1-line block ×4, first 2 shown]
	ds_write_b64 v218, v[4:5] offset:560
	v_mul_u32_u24_e32 v4, 0x268, v208
	v_lshlrev_b32_sdwa v5, v214, v209 dst_sel:DWORD dst_unused:UNUSED_PAD src0_sel:DWORD src1_sel:BYTE_0
	v_add_f64 v[28:29], v[28:29], v[126:127]
	v_add3_u32 v219, 0, v4, v5
	v_mul_u32_u24_e32 v4, 0x268, v212
	v_lshlrev_b32_sdwa v5, v214, v213 dst_sel:DWORD dst_unused:UNUSED_PAD src0_sel:DWORD src1_sel:BYTE_0
	v_add_f64 v[28:29], v[28:29], v[150:151]
	v_add3_u32 v220, 0, v4, v5
	v_add_f64 v[248:249], v[254:255], v[248:249]
	ds_write2_b64 v219, v[28:29], v[52:53] offset1:7
	ds_write2_b64 v219, v[54:55], v[58:59] offset0:14 offset1:21
	ds_write2_b64 v219, v[180:181], v[188:189] offset0:28 offset1:35
	;; [unrolled: 1-line block ×4, first 2 shown]
	ds_write_b64 v219, v[30:31] offset:560
	ds_write2_b64 v220, v[228:229], v[236:237] offset1:7
	ds_write2_b64 v220, v[240:241], v[244:245] offset0:14 offset1:21
	ds_write2_b64 v220, v[248:249], v[250:251] offset0:28 offset1:35
	;; [unrolled: 1-line block ×4, first 2 shown]
	ds_write_b64 v220, v[234:235] offset:560
	s_and_saveexec_b64 s[36:37], s[0:1]
	s_cbranch_execz .LBB0_19
; %bb.18:
	v_add_f64 v[140:141], v[178:179], -v[202:203]
	v_add_f64 v[52:53], v[114:115], -v[198:199]
	v_add_f64 v[58:59], v[176:177], v[200:201]
	v_mul_f64 v[180:181], v[140:141], s[20:21]
	v_add_f64 v[24:25], v[88:89], -v[184:185]
	v_add_f64 v[30:31], v[108:109], v[196:197]
	v_mul_f64 v[54:55], v[52:53], s[26:27]
	v_fma_f64 v[186:187], s[22:23], v[58:59], v[180:181]
	v_add_f64 v[16:17], v[62:63], -v[222:223]
	v_add_f64 v[22:23], v[78:79], v[182:183]
	v_mul_f64 v[26:27], v[24:25], s[16:17]
	v_fma_f64 v[56:57], s[2:3], v[30:31], v[54:55]
	v_add_f64 v[186:187], v[226:227], v[186:187]
	v_add_f64 v[8:9], v[66:67], -v[174:175]
	v_add_f64 v[14:15], v[60:61], v[206:207]
	v_mul_f64 v[18:19], v[16:17], s[28:29]
	v_fma_f64 v[28:29], s[18:19], v[22:23], v[26:27]
	v_add_f64 v[56:57], v[56:57], v[186:187]
	v_add_f64 v[4:5], v[64:65], v[172:173]
	v_mul_f64 v[10:11], v[8:9], s[10:11]
	v_fma_f64 v[20:21], s[6:7], v[14:15], v[18:19]
	v_add_f64 v[28:29], v[28:29], v[56:57]
	v_fma_f64 v[12:13], s[12:13], v[4:5], v[10:11]
	v_add_f64 v[20:21], v[20:21], v[28:29]
	v_fma_f64 v[28:29], v[58:59], s[22:23], -v[180:181]
	v_add_f64 v[12:13], v[12:13], v[20:21]
	v_fma_f64 v[20:21], v[22:23], s[18:19], -v[26:27]
	v_fma_f64 v[26:27], v[30:31], s[2:3], -v[54:55]
	v_add_f64 v[28:29], v[226:227], v[28:29]
	v_mul_f64 v[188:189], v[140:141], s[16:17]
	v_add_f64 v[26:27], v[26:27], v[28:29]
	v_mul_f64 v[180:181], v[52:53], s[30:31]
	v_fma_f64 v[204:205], s[18:19], v[58:59], v[188:189]
	v_fma_f64 v[18:19], v[14:15], s[6:7], -v[18:19]
	v_add_f64 v[20:21], v[20:21], v[26:27]
	v_mul_f64 v[54:55], v[24:25], s[14:15]
	v_fma_f64 v[186:187], s[12:13], v[30:31], v[180:181]
	v_add_f64 v[204:205], v[226:227], v[204:205]
	v_fma_f64 v[10:11], v[4:5], s[12:13], -v[10:11]
	v_add_f64 v[18:19], v[18:19], v[20:21]
	v_mul_f64 v[26:27], v[16:17], s[20:21]
	v_fma_f64 v[56:57], s[2:3], v[22:23], v[54:55]
	v_add_f64 v[186:187], v[186:187], v[204:205]
	v_add_f64 v[10:11], v[10:11], v[18:19]
	v_mul_f64 v[18:19], v[8:9], s[28:29]
	v_fma_f64 v[28:29], s[22:23], v[14:15], v[26:27]
	v_add_f64 v[56:57], v[56:57], v[186:187]
	v_fma_f64 v[20:21], s[6:7], v[4:5], v[18:19]
	v_add_f64 v[28:29], v[28:29], v[56:57]
	v_fma_f64 v[56:57], v[58:59], s[18:19], -v[188:189]
	v_add_f64 v[20:21], v[20:21], v[28:29]
	v_fma_f64 v[28:29], v[22:23], s[2:3], -v[54:55]
	v_fma_f64 v[54:55], v[30:31], s[12:13], -v[180:181]
	v_add_f64 v[56:57], v[226:227], v[56:57]
	v_mul_f64 v[208:209], v[140:141], s[10:11]
	v_add_f64 v[54:55], v[54:55], v[56:57]
	v_mul_f64 v[188:189], v[52:53], s[34:35]
	v_fma_f64 v[212:213], s[12:13], v[58:59], v[208:209]
	v_fma_f64 v[26:27], v[14:15], s[22:23], -v[26:27]
	v_add_f64 v[28:29], v[28:29], v[54:55]
	v_mul_f64 v[180:181], v[24:25], s[28:29]
	v_fma_f64 v[204:205], s[22:23], v[30:31], v[188:189]
	v_add_f64 v[212:213], v[226:227], v[212:213]
	v_fma_f64 v[18:19], v[4:5], s[6:7], -v[18:19]
	;; [unrolled: 25-line block ×3, first 2 shown]
	v_add_f64 v[54:55], v[54:55], v[56:57]
	v_mul_f64 v[180:181], v[16:17], s[30:31]
	v_fma_f64 v[204:205], s[22:23], v[22:23], v[188:189]
	v_add_f64 v[212:213], v[212:213], v[232:233]
	v_add_f64 v[26:27], v[26:27], v[54:55]
	v_mul_f64 v[54:55], v[8:9], s[26:27]
	v_fma_f64 v[186:187], s[12:13], v[14:15], v[180:181]
	v_add_f64 v[204:205], v[204:205], v[212:213]
	v_fma_f64 v[56:57], s[2:3], v[4:5], v[54:55]
	v_add_f64 v[186:187], v[186:187], v[204:205]
	v_fma_f64 v[204:205], v[58:59], s[6:7], -v[228:229]
	v_add_f64 v[56:57], v[56:57], v[186:187]
	v_fma_f64 v[186:187], v[22:23], s[22:23], -v[188:189]
	v_fma_f64 v[188:189], v[30:31], s[18:19], -v[208:209]
	v_add_f64 v[204:205], v[226:227], v[204:205]
	v_add_f64 v[188:189], v[188:189], v[204:205]
	v_fma_f64 v[180:181], v[14:15], s[12:13], -v[180:181]
	v_add_f64 v[186:187], v[186:187], v[188:189]
	v_fma_f64 v[54:55], v[4:5], s[2:3], -v[54:55]
	v_add_f64 v[180:181], v[180:181], v[186:187]
	v_mul_f64 v[8:9], v[8:9], s[20:21]
	v_mul_f64 v[16:17], v[16:17], s[16:17]
	;; [unrolled: 1-line block ×4, first 2 shown]
	v_add_f64 v[54:55], v[54:55], v[180:181]
	v_fma_f64 v[180:181], s[22:23], v[4:5], v[8:9]
	v_fma_f64 v[186:187], s[18:19], v[14:15], v[16:17]
	;; [unrolled: 1-line block ×3, first 2 shown]
	v_mul_f64 v[52:53], v[52:53], s[24:25]
	v_fma_f64 v[4:5], v[4:5], s[22:23], -v[8:9]
	v_fma_f64 v[8:9], v[14:15], s[18:19], -v[16:17]
	;; [unrolled: 1-line block ×5, first 2 shown]
	v_add_f64 v[22:23], v[226:227], v[22:23]
	v_add_f64 v[16:17], v[16:17], v[22:23]
	;; [unrolled: 1-line block ×10, first 2 shown]
	v_fma_f64 v[208:209], s[2:3], v[58:59], v[140:141]
	v_add_f64 v[8:9], v[8:9], v[172:173]
	v_fma_f64 v[204:205], s[6:7], v[30:31], v[52:53]
	v_add_f64 v[208:209], v[226:227], v[208:209]
	v_add_f64 v[8:9], v[8:9], v[206:207]
	;; [unrolled: 1-line block ×6, first 2 shown]
	v_mul_u32_u24_e32 v14, 0x268, v210
	v_lshlrev_b32_sdwa v15, v214, v211 dst_sel:DWORD dst_unused:UNUSED_PAD src0_sel:DWORD src1_sel:BYTE_0
	v_add_f64 v[186:187], v[186:187], v[188:189]
	v_add_f64 v[8:9], v[8:9], v[200:201]
	v_add3_u32 v14, 0, v14, v15
	v_add_f64 v[180:181], v[180:181], v[186:187]
	ds_write2_b64 v14, v[8:9], v[4:5] offset1:7
	ds_write2_b64 v14, v[54:55], v[26:27] offset0:14 offset1:21
	ds_write2_b64 v14, v[18:19], v[10:11] offset0:28 offset1:35
	;; [unrolled: 1-line block ×4, first 2 shown]
	ds_write_b64 v14, v[180:181] offset:560
.LBB0_19:
	s_or_b64 exec, exec, s[36:37]
	v_add_f64 v[4:5], v[0:1], v[164:165]
	v_add_f64 v[4:5], v[4:5], v[160:161]
	;; [unrolled: 1-line block ×9, first 2 shown]
	v_add_f64 v[8:9], v[162:163], -v[90:91]
	v_add_f64 v[204:205], v[4:5], v[132:133]
	v_add_f64 v[4:5], v[164:165], v[132:133]
	v_mul_f64 v[10:11], v[8:9], s[14:15]
	v_mul_f64 v[14:15], v[8:9], s[24:25]
	;; [unrolled: 1-line block ×5, first 2 shown]
	v_fma_f64 v[12:13], s[2:3], v[4:5], v[10:11]
	v_fma_f64 v[10:11], v[4:5], s[2:3], -v[10:11]
	v_fma_f64 v[16:17], s[6:7], v[4:5], v[14:15]
	v_fma_f64 v[14:15], v[4:5], s[6:7], -v[14:15]
	;; [unrolled: 2-line block ×5, first 2 shown]
	v_add_f64 v[8:9], v[158:159], -v[124:125]
	v_add_f64 v[12:13], v[0:1], v[12:13]
	v_add_f64 v[10:11], v[0:1], v[10:11]
	;; [unrolled: 1-line block ×11, first 2 shown]
	v_mul_f64 v[28:29], v[8:9], s[24:25]
	v_fma_f64 v[30:31], s[6:7], v[4:5], v[28:29]
	v_fma_f64 v[28:29], v[4:5], s[6:7], -v[28:29]
	v_add_f64 v[10:11], v[28:29], v[10:11]
	v_mul_f64 v[28:29], v[8:9], s[16:17]
	v_add_f64 v[12:13], v[30:31], v[12:13]
	v_fma_f64 v[30:31], s[18:19], v[4:5], v[28:29]
	v_fma_f64 v[28:29], v[4:5], s[18:19], -v[28:29]
	v_add_f64 v[14:15], v[28:29], v[14:15]
	v_mul_f64 v[28:29], v[8:9], s[34:35]
	v_add_f64 v[16:17], v[30:31], v[16:17]
	;; [unrolled: 5-line block ×3, first 2 shown]
	v_fma_f64 v[30:31], s[12:13], v[4:5], v[28:29]
	v_fma_f64 v[28:29], v[4:5], s[12:13], -v[28:29]
	v_mul_f64 v[8:9], v[8:9], s[26:27]
	v_add_f64 v[22:23], v[28:29], v[22:23]
	v_fma_f64 v[28:29], s[2:3], v[4:5], v[8:9]
	v_fma_f64 v[4:5], v[4:5], s[2:3], -v[8:9]
	v_add_f64 v[8:9], v[154:155], -v[94:95]
	v_add_f64 v[26:27], v[28:29], v[26:27]
	v_add_f64 v[0:1], v[4:5], v[0:1]
	;; [unrolled: 1-line block ×3, first 2 shown]
	v_mul_f64 v[28:29], v[8:9], s[10:11]
	v_add_f64 v[24:25], v[30:31], v[24:25]
	v_fma_f64 v[30:31], s[12:13], v[4:5], v[28:29]
	v_fma_f64 v[28:29], v[4:5], s[12:13], -v[28:29]
	v_add_f64 v[10:11], v[28:29], v[10:11]
	v_mul_f64 v[28:29], v[8:9], s[34:35]
	v_add_f64 v[12:13], v[30:31], v[12:13]
	v_fma_f64 v[30:31], s[22:23], v[4:5], v[28:29]
	v_fma_f64 v[28:29], v[4:5], s[22:23], -v[28:29]
	v_add_f64 v[14:15], v[28:29], v[14:15]
	;; [unrolled: 5-line block ×3, first 2 shown]
	v_mul_f64 v[28:29], v[8:9], s[14:15]
	v_add_f64 v[20:21], v[30:31], v[20:21]
	v_fma_f64 v[30:31], s[2:3], v[4:5], v[28:29]
	v_fma_f64 v[28:29], v[4:5], s[2:3], -v[28:29]
	v_mul_f64 v[8:9], v[8:9], s[16:17]
	v_add_f64 v[22:23], v[28:29], v[22:23]
	v_fma_f64 v[28:29], s[18:19], v[4:5], v[8:9]
	v_fma_f64 v[4:5], v[4:5], s[18:19], -v[8:9]
	v_add_f64 v[8:9], v[110:111], -v[106:107]
	v_add_f64 v[26:27], v[28:29], v[26:27]
	v_add_f64 v[0:1], v[4:5], v[0:1]
	;; [unrolled: 1-line block ×3, first 2 shown]
	v_mul_f64 v[28:29], v[8:9], s[16:17]
	v_add_f64 v[24:25], v[30:31], v[24:25]
	v_fma_f64 v[30:31], s[18:19], v[4:5], v[28:29]
	v_fma_f64 v[28:29], v[4:5], s[18:19], -v[28:29]
	v_add_f64 v[10:11], v[28:29], v[10:11]
	v_mul_f64 v[28:29], v[8:9], s[30:31]
	v_add_f64 v[12:13], v[30:31], v[12:13]
	v_fma_f64 v[30:31], s[12:13], v[4:5], v[28:29]
	v_fma_f64 v[28:29], v[4:5], s[12:13], -v[28:29]
	v_add_f64 v[14:15], v[28:29], v[14:15]
	;; [unrolled: 5-line block ×3, first 2 shown]
	v_mul_f64 v[28:29], v[8:9], s[20:21]
	v_add_f64 v[20:21], v[30:31], v[20:21]
	v_fma_f64 v[30:31], s[22:23], v[4:5], v[28:29]
	v_fma_f64 v[28:29], v[4:5], s[22:23], -v[28:29]
	v_mul_f64 v[8:9], v[8:9], s[28:29]
	v_add_f64 v[22:23], v[28:29], v[22:23]
	v_fma_f64 v[28:29], s[6:7], v[4:5], v[8:9]
	v_fma_f64 v[4:5], v[4:5], s[6:7], -v[8:9]
	v_add_f64 v[2:3], v[2:3], -v[70:71]
	v_add_f64 v[0:1], v[4:5], v[0:1]
	v_add_f64 v[4:5], v[6:7], v[74:75]
	v_mul_f64 v[6:7], v[2:3], s[20:21]
	v_fma_f64 v[8:9], s[22:23], v[4:5], v[6:7]
	v_fma_f64 v[6:7], v[4:5], s[22:23], -v[6:7]
	v_add_f64 v[70:71], v[6:7], v[10:11]
	v_mul_f64 v[6:7], v[2:3], s[26:27]
	v_add_f64 v[74:75], v[8:9], v[12:13]
	v_fma_f64 v[8:9], s[2:3], v[4:5], v[6:7]
	v_fma_f64 v[6:7], v[4:5], s[2:3], -v[6:7]
	v_add_f64 v[90:91], v[6:7], v[14:15]
	v_mul_f64 v[6:7], v[2:3], s[16:17]
	v_add_f64 v[94:95], v[8:9], v[16:17]
	;; [unrolled: 5-line block ×3, first 2 shown]
	v_fma_f64 v[8:9], s[6:7], v[4:5], v[6:7]
	v_fma_f64 v[6:7], v[4:5], s[6:7], -v[6:7]
	v_mul_f64 v[2:3], v[2:3], s[10:11]
	v_add_f64 v[154:155], v[6:7], v[22:23]
	v_fma_f64 v[6:7], s[12:13], v[4:5], v[2:3]
	v_fma_f64 v[2:3], v[4:5], s[12:13], -v[2:3]
	v_add_f64 v[158:159], v[2:3], v[0:1]
	v_add_f64 v[0:1], v[152:153], v[168:169]
	;; [unrolled: 1-line block ×11, first 2 shown]
	v_add_f64 v[2:3], v[166:167], -v[150:151]
	v_add_f64 v[26:27], v[28:29], v[26:27]
	v_add_f64 v[136:137], v[8:9], v[24:25]
	;; [unrolled: 1-line block ×4, first 2 shown]
	v_mul_f64 v[4:5], v[2:3], s[14:15]
	v_mul_f64 v[8:9], v[2:3], s[24:25]
	;; [unrolled: 1-line block ×5, first 2 shown]
	v_add_f64 v[22:23], v[142:143], -v[126:127]
	v_add_f64 v[156:157], v[6:7], v[26:27]
	v_fma_f64 v[6:7], s[2:3], v[0:1], v[4:5]
	v_fma_f64 v[4:5], v[0:1], s[2:3], -v[4:5]
	v_fma_f64 v[10:11], s[6:7], v[0:1], v[8:9]
	v_fma_f64 v[8:9], v[0:1], s[6:7], -v[8:9]
	;; [unrolled: 2-line block ×5, first 2 shown]
	v_add_f64 v[2:3], v[148:149], v[32:33]
	v_mul_f64 v[24:25], v[22:23], s[24:25]
	v_add_f64 v[4:5], v[152:153], v[4:5]
	v_fma_f64 v[26:27], s[6:7], v[2:3], v[24:25]
	v_fma_f64 v[24:25], v[2:3], s[6:7], -v[24:25]
	v_add_f64 v[6:7], v[152:153], v[6:7]
	v_add_f64 v[4:5], v[24:25], v[4:5]
	v_mul_f64 v[24:25], v[22:23], s[16:17]
	v_add_f64 v[8:9], v[152:153], v[8:9]
	v_add_f64 v[6:7], v[26:27], v[6:7]
	v_fma_f64 v[26:27], s[18:19], v[2:3], v[24:25]
	v_fma_f64 v[24:25], v[2:3], s[18:19], -v[24:25]
	v_add_f64 v[10:11], v[152:153], v[10:11]
	v_add_f64 v[8:9], v[24:25], v[8:9]
	v_mul_f64 v[24:25], v[22:23], s[34:35]
	v_add_f64 v[12:13], v[152:153], v[12:13]
	;; [unrolled: 7-line block ×3, first 2 shown]
	v_add_f64 v[14:15], v[26:27], v[14:15]
	v_fma_f64 v[26:27], s[12:13], v[2:3], v[24:25]
	v_fma_f64 v[24:25], v[2:3], s[12:13], -v[24:25]
	v_mul_f64 v[22:23], v[22:23], s[26:27]
	v_add_f64 v[20:21], v[152:153], v[20:21]
	v_add_f64 v[0:1], v[152:153], v[0:1]
	;; [unrolled: 1-line block ×3, first 2 shown]
	v_fma_f64 v[24:25], s[2:3], v[2:3], v[22:23]
	v_fma_f64 v[2:3], v[2:3], s[2:3], -v[22:23]
	v_add_f64 v[22:23], v[116:117], -v[96:97]
	v_add_f64 v[18:19], v[152:153], v[18:19]
	v_add_f64 v[20:21], v[24:25], v[20:21]
	v_add_f64 v[0:1], v[2:3], v[0:1]
	v_add_f64 v[2:3], v[120:121], v[138:139]
	v_mul_f64 v[24:25], v[22:23], s[10:11]
	v_add_f64 v[18:19], v[26:27], v[18:19]
	v_fma_f64 v[26:27], s[12:13], v[2:3], v[24:25]
	v_fma_f64 v[24:25], v[2:3], s[12:13], -v[24:25]
	v_add_f64 v[4:5], v[24:25], v[4:5]
	v_mul_f64 v[24:25], v[22:23], s[34:35]
	v_add_f64 v[6:7], v[26:27], v[6:7]
	v_fma_f64 v[26:27], s[22:23], v[2:3], v[24:25]
	v_fma_f64 v[24:25], v[2:3], s[22:23], -v[24:25]
	v_add_f64 v[8:9], v[24:25], v[8:9]
	;; [unrolled: 5-line block ×3, first 2 shown]
	v_mul_f64 v[24:25], v[22:23], s[14:15]
	v_add_f64 v[14:15], v[26:27], v[14:15]
	v_fma_f64 v[26:27], s[2:3], v[2:3], v[24:25]
	v_fma_f64 v[24:25], v[2:3], s[2:3], -v[24:25]
	v_mul_f64 v[22:23], v[22:23], s[16:17]
	v_add_f64 v[16:17], v[24:25], v[16:17]
	v_fma_f64 v[24:25], s[18:19], v[2:3], v[22:23]
	v_fma_f64 v[2:3], v[2:3], s[18:19], -v[22:23]
	v_add_f64 v[22:23], v[80:81], -v[130:131]
	v_add_f64 v[20:21], v[24:25], v[20:21]
	v_add_f64 v[0:1], v[2:3], v[0:1]
	;; [unrolled: 1-line block ×3, first 2 shown]
	v_mul_f64 v[24:25], v[22:23], s[16:17]
	v_add_f64 v[18:19], v[26:27], v[18:19]
	v_fma_f64 v[26:27], s[18:19], v[2:3], v[24:25]
	v_fma_f64 v[24:25], v[2:3], s[18:19], -v[24:25]
	v_add_f64 v[4:5], v[24:25], v[4:5]
	v_mul_f64 v[24:25], v[22:23], s[30:31]
	v_add_f64 v[6:7], v[26:27], v[6:7]
	v_fma_f64 v[26:27], s[12:13], v[2:3], v[24:25]
	v_fma_f64 v[24:25], v[2:3], s[12:13], -v[24:25]
	v_add_f64 v[8:9], v[24:25], v[8:9]
	;; [unrolled: 5-line block ×3, first 2 shown]
	v_mul_f64 v[24:25], v[22:23], s[20:21]
	v_add_f64 v[14:15], v[26:27], v[14:15]
	v_fma_f64 v[26:27], s[22:23], v[2:3], v[24:25]
	v_fma_f64 v[24:25], v[2:3], s[22:23], -v[24:25]
	v_mul_f64 v[22:23], v[22:23], s[28:29]
	v_add_f64 v[16:17], v[24:25], v[16:17]
	v_fma_f64 v[24:25], s[6:7], v[2:3], v[22:23]
	v_fma_f64 v[2:3], v[2:3], s[6:7], -v[22:23]
	v_add_f64 v[22:23], v[112:113], -v[100:101]
	v_add_f64 v[20:21], v[24:25], v[20:21]
	v_add_f64 v[0:1], v[2:3], v[0:1]
	;; [unrolled: 1-line block ×3, first 2 shown]
	v_mul_f64 v[24:25], v[22:23], s[20:21]
	v_add_f64 v[18:19], v[26:27], v[18:19]
	v_fma_f64 v[26:27], s[22:23], v[2:3], v[24:25]
	v_fma_f64 v[24:25], v[2:3], s[22:23], -v[24:25]
	v_add_f64 v[4:5], v[24:25], v[4:5]
	v_mul_f64 v[24:25], v[22:23], s[26:27]
	v_add_f64 v[6:7], v[26:27], v[6:7]
	v_fma_f64 v[26:27], s[2:3], v[2:3], v[24:25]
	v_add_f64 v[80:81], v[26:27], v[10:11]
	v_fma_f64 v[10:11], v[2:3], s[2:3], -v[24:25]
	v_add_f64 v[84:85], v[10:11], v[8:9]
	v_mul_f64 v[8:9], v[22:23], s[16:17]
	v_fma_f64 v[10:11], s[18:19], v[2:3], v[8:9]
	v_fma_f64 v[8:9], v[2:3], s[18:19], -v[8:9]
	v_add_f64 v[100:101], v[8:9], v[12:13]
	v_mul_f64 v[8:9], v[22:23], s[28:29]
	v_add_f64 v[96:97], v[10:11], v[14:15]
	v_fma_f64 v[10:11], s[6:7], v[2:3], v[8:9]
	v_fma_f64 v[8:9], v[2:3], s[6:7], -v[8:9]
	v_add_f64 v[116:117], v[8:9], v[16:17]
	v_mul_f64 v[8:9], v[22:23], s[10:11]
	v_add_f64 v[112:113], v[10:11], v[18:19]
	v_fma_f64 v[10:11], s[12:13], v[2:3], v[8:9]
	v_fma_f64 v[2:3], v[2:3], s[12:13], -v[8:9]
	v_add_f64 v[134:135], v[2:3], v[0:1]
	v_add_f64 v[0:1], v[146:147], v[170:171]
	;; [unrolled: 1-line block ×10, first 2 shown]
	v_add_f64 v[2:3], v[122:123], -v[192:193]
	v_add_f64 v[120:121], v[10:11], v[20:21]
	v_add_f64 v[138:139], v[0:1], v[194:195]
	;; [unrolled: 1-line block ×3, first 2 shown]
	v_mul_f64 v[8:9], v[2:3], s[14:15]
	v_mul_f64 v[12:13], v[2:3], s[24:25]
	;; [unrolled: 1-line block ×5, first 2 shown]
	v_add_f64 v[26:27], v[86:87], -v[190:191]
	v_fma_f64 v[10:11], s[2:3], v[0:1], v[8:9]
	v_fma_f64 v[8:9], v[0:1], s[2:3], -v[8:9]
	v_fma_f64 v[14:15], s[6:7], v[0:1], v[12:13]
	v_fma_f64 v[12:13], v[0:1], s[6:7], -v[12:13]
	;; [unrolled: 2-line block ×5, first 2 shown]
	v_add_f64 v[2:3], v[118:119], v[34:35]
	v_mul_f64 v[28:29], v[26:27], s[24:25]
	v_add_f64 v[8:9], v[146:147], v[8:9]
	v_fma_f64 v[30:31], s[6:7], v[2:3], v[28:29]
	v_fma_f64 v[28:29], v[2:3], s[6:7], -v[28:29]
	v_add_f64 v[10:11], v[146:147], v[10:11]
	v_add_f64 v[8:9], v[28:29], v[8:9]
	v_mul_f64 v[28:29], v[26:27], s[16:17]
	v_add_f64 v[12:13], v[146:147], v[12:13]
	v_add_f64 v[10:11], v[30:31], v[10:11]
	v_fma_f64 v[30:31], s[18:19], v[2:3], v[28:29]
	v_fma_f64 v[28:29], v[2:3], s[18:19], -v[28:29]
	v_add_f64 v[14:15], v[146:147], v[14:15]
	v_add_f64 v[12:13], v[28:29], v[12:13]
	v_mul_f64 v[28:29], v[26:27], s[34:35]
	v_add_f64 v[16:17], v[146:147], v[16:17]
	;; [unrolled: 7-line block ×3, first 2 shown]
	v_add_f64 v[18:19], v[30:31], v[18:19]
	v_fma_f64 v[30:31], s[12:13], v[2:3], v[28:29]
	v_fma_f64 v[28:29], v[2:3], s[12:13], -v[28:29]
	v_mul_f64 v[26:27], v[26:27], s[26:27]
	v_add_f64 v[24:25], v[146:147], v[24:25]
	v_add_f64 v[0:1], v[146:147], v[0:1]
	;; [unrolled: 1-line block ×3, first 2 shown]
	v_fma_f64 v[28:29], s[2:3], v[2:3], v[26:27]
	v_fma_f64 v[2:3], v[2:3], s[2:3], -v[26:27]
	v_add_f64 v[26:27], v[76:77], -v[98:99]
	v_add_f64 v[22:23], v[146:147], v[22:23]
	v_add_f64 v[24:25], v[28:29], v[24:25]
	;; [unrolled: 1-line block ×4, first 2 shown]
	v_mul_f64 v[28:29], v[26:27], s[10:11]
	v_add_f64 v[22:23], v[30:31], v[22:23]
	v_fma_f64 v[30:31], s[12:13], v[2:3], v[28:29]
	v_fma_f64 v[28:29], v[2:3], s[12:13], -v[28:29]
	v_add_f64 v[8:9], v[28:29], v[8:9]
	v_mul_f64 v[28:29], v[26:27], s[34:35]
	v_add_f64 v[10:11], v[30:31], v[10:11]
	v_fma_f64 v[30:31], s[22:23], v[2:3], v[28:29]
	v_fma_f64 v[28:29], v[2:3], s[22:23], -v[28:29]
	v_add_f64 v[12:13], v[28:29], v[12:13]
	;; [unrolled: 5-line block ×3, first 2 shown]
	v_mul_f64 v[28:29], v[26:27], s[14:15]
	v_add_f64 v[18:19], v[30:31], v[18:19]
	v_fma_f64 v[30:31], s[2:3], v[2:3], v[28:29]
	v_fma_f64 v[28:29], v[2:3], s[2:3], -v[28:29]
	v_mul_f64 v[26:27], v[26:27], s[16:17]
	v_add_f64 v[20:21], v[28:29], v[20:21]
	v_fma_f64 v[28:29], s[18:19], v[2:3], v[26:27]
	v_fma_f64 v[2:3], v[2:3], s[18:19], -v[26:27]
	v_add_f64 v[26:27], v[72:73], -v[92:93]
	v_add_f64 v[24:25], v[28:29], v[24:25]
	v_add_f64 v[0:1], v[2:3], v[0:1]
	v_add_f64 v[2:3], v[68:69], v[46:47]
	v_mul_f64 v[28:29], v[26:27], s[16:17]
	v_add_f64 v[22:23], v[30:31], v[22:23]
	v_fma_f64 v[30:31], s[18:19], v[2:3], v[28:29]
	v_fma_f64 v[28:29], v[2:3], s[18:19], -v[28:29]
	v_add_f64 v[8:9], v[28:29], v[8:9]
	v_mul_f64 v[28:29], v[26:27], s[30:31]
	v_add_f64 v[10:11], v[30:31], v[10:11]
	v_fma_f64 v[30:31], s[12:13], v[2:3], v[28:29]
	v_fma_f64 v[28:29], v[2:3], s[12:13], -v[28:29]
	v_add_f64 v[12:13], v[28:29], v[12:13]
	;; [unrolled: 5-line block ×3, first 2 shown]
	v_mul_f64 v[28:29], v[26:27], s[20:21]
	v_add_f64 v[18:19], v[30:31], v[18:19]
	v_fma_f64 v[30:31], s[22:23], v[2:3], v[28:29]
	v_fma_f64 v[28:29], v[2:3], s[22:23], -v[28:29]
	v_mul_f64 v[26:27], v[26:27], s[28:29]
	v_add_f64 v[20:21], v[28:29], v[20:21]
	v_fma_f64 v[28:29], s[6:7], v[2:3], v[26:27]
	v_fma_f64 v[2:3], v[2:3], s[6:7], -v[26:27]
	v_add_f64 v[26:27], v[104:105], -v[102:103]
	v_add_f64 v[24:25], v[28:29], v[24:25]
	v_add_f64 v[0:1], v[2:3], v[0:1]
	;; [unrolled: 1-line block ×3, first 2 shown]
	v_mul_f64 v[28:29], v[26:27], s[20:21]
	v_add_f64 v[22:23], v[30:31], v[22:23]
	v_fma_f64 v[30:31], s[22:23], v[2:3], v[28:29]
	v_add_f64 v[68:69], v[30:31], v[10:11]
	v_fma_f64 v[10:11], v[2:3], s[22:23], -v[28:29]
	v_add_f64 v[72:73], v[10:11], v[8:9]
	v_mul_f64 v[8:9], v[26:27], s[26:27]
	v_fma_f64 v[10:11], s[2:3], v[2:3], v[8:9]
	v_fma_f64 v[8:9], v[2:3], s[2:3], -v[8:9]
	v_add_f64 v[82:83], v[8:9], v[12:13]
	v_mul_f64 v[8:9], v[26:27], s[16:17]
	v_add_f64 v[76:77], v[10:11], v[14:15]
	v_fma_f64 v[10:11], s[18:19], v[2:3], v[8:9]
	v_fma_f64 v[8:9], v[2:3], s[18:19], -v[8:9]
	v_add_f64 v[92:93], v[8:9], v[16:17]
	v_mul_f64 v[8:9], v[26:27], s[28:29]
	v_add_f64 v[86:87], v[10:11], v[18:19]
	;; [unrolled: 5-line block ×3, first 2 shown]
	v_fma_f64 v[10:11], s[12:13], v[2:3], v[8:9]
	v_fma_f64 v[2:3], v[2:3], s[12:13], -v[8:9]
	v_accvgpr_read_b32 v122, a0
	v_add_f64 v[118:119], v[2:3], v[0:1]
	v_add_u32_e32 v142, 0x800, v230
	v_add_u32_e32 v148, 0x1400, v230
	;; [unrolled: 1-line block ×6, first 2 shown]
	v_accvgpr_read_b32 v146, a8
	v_add_u32_e32 v162, 0xc00, v230
	v_add_u32_e32 v163, 0x2400, v230
	v_accvgpr_read_b32 v141, a6
	v_lshl_add_u32 v0, v122, 3, 0
	v_add_f64 v[104:105], v[10:11], v[24:25]
	s_waitcnt lgkmcnt(0)
	; wave barrier
	s_waitcnt lgkmcnt(0)
	ds_read_b64 v[130:131], v230
	ds_read_b64 v[126:127], v146
	ds_read2_b64 v[56:59], v142 offset0:129 offset1:184
	ds_read2_b64 v[8:11], v148 offset0:75 offset1:130
	;; [unrolled: 1-line block ×8, first 2 shown]
	ds_read_b64 v[128:129], v141
	ds_read2_b64 v[32:35], v152 offset0:167 offset1:222
	ds_read2_b64 v[24:27], v231 offset0:169 offset1:224
	v_accvgpr_read_b32 v140, a5
	v_accvgpr_read_b32 v123, a7
	v_add_u32_e32 v167, 0x1000, v230
	v_add_u32_e32 v168, 0x2800, v230
	;; [unrolled: 1-line block ×4, first 2 shown]
	v_lshl_add_u32 v166, v140, 3, 0
	ds_read_b64 v[132:133], v123
	ds_read_b64 v[124:125], v166
	ds_read2_b64 v[28:31], v167 offset0:93 offset1:148
	ds_read2_b64 v[20:23], v168 offset0:95 offset1:150
	v_accvgpr_write_b32 a10, v0
	ds_read2_b64 v[0:3], v169 offset0:19 offset1:74
	ds_read2_b64 v[16:19], v147 offset0:21 offset1:76
	v_accvgpr_write_b32 a12, v12
	ds_read2_b64 v[12:15], v12 offset0:23 offset1:78
	s_waitcnt lgkmcnt(0)
	; wave barrier
	s_waitcnt lgkmcnt(0)
	ds_write2_b64 v218, v[204:205], v[74:75] offset1:7
	ds_write2_b64 v218, v[94:95], v[110:111] offset0:14 offset1:21
	ds_write2_b64 v218, v[136:137], v[156:157] offset0:28 offset1:35
	ds_write2_b64 v218, v[158:159], v[154:155] offset0:42 offset1:49
	ds_write2_b64 v218, v[106:107], v[90:91] offset0:56 offset1:63
	ds_write_b64 v218, v[70:71] offset:560
	ds_write2_b64 v219, v[160:161], v[6:7] offset1:7
	ds_write2_b64 v219, v[80:81], v[96:97] offset0:14 offset1:21
	ds_write2_b64 v219, v[112:113], v[120:121] offset0:28 offset1:35
	ds_write2_b64 v219, v[134:135], v[116:117] offset0:42 offset1:49
	ds_write2_b64 v219, v[100:101], v[84:85] offset0:56 offset1:63
	ds_write_b64 v219, v[4:5] offset:560
	;; [unrolled: 6-line block ×3, first 2 shown]
	s_and_saveexec_b64 s[2:3], s[0:1]
	s_cbranch_execz .LBB0_21
; %bb.20:
	s_mov_b32 s16, 0xf8bb580b
	s_mov_b32 s12, 0x43842ef
	;; [unrolled: 1-line block ×4, first 2 shown]
	v_add_f64 v[68:69], v[176:177], -v[200:201]
	s_mov_b32 s17, 0xbfe14ced
	s_mov_b32 s0, 0x8764f0ba
	;; [unrolled: 1-line block ×11, first 2 shown]
	v_add_f64 v[6:7], v[178:179], v[202:203]
	v_mul_f64 v[70:71], v[68:69], s[16:17]
	s_mov_b32 s1, 0x3feaeb8c
	v_mul_f64 v[74:75], v[68:69], s[6:7]
	s_mov_b32 s11, 0x3fda9628
	;; [unrolled: 2-line block ×5, first 2 shown]
	v_add_f64 v[92:93], v[108:109], -v[196:197]
	v_fma_f64 v[72:73], s[0:1], v[6:7], v[70:71]
	v_fma_f64 v[70:71], v[6:7], s[0:1], -v[70:71]
	v_fma_f64 v[76:77], s[10:11], v[6:7], v[74:75]
	v_fma_f64 v[74:75], v[6:7], s[10:11], -v[74:75]
	;; [unrolled: 2-line block ×5, first 2 shown]
	v_add_f64 v[68:69], v[114:115], v[198:199]
	v_mul_f64 v[94:95], v[92:93], s[6:7]
	v_add_f64 v[70:71], v[224:225], v[70:71]
	v_fma_f64 v[96:97], s[10:11], v[68:69], v[94:95]
	v_fma_f64 v[94:95], v[68:69], s[10:11], -v[94:95]
	v_add_f64 v[72:73], v[224:225], v[72:73]
	v_add_f64 v[70:71], v[94:95], v[70:71]
	v_mul_f64 v[94:95], v[92:93], s[18:19]
	v_add_f64 v[74:75], v[224:225], v[74:75]
	v_add_f64 v[72:73], v[96:97], v[72:73]
	v_fma_f64 v[96:97], s[20:21], v[68:69], v[94:95]
	v_fma_f64 v[94:95], v[68:69], s[20:21], -v[94:95]
	s_mov_b32 s27, 0x3fd207e7
	s_mov_b32 s26, s22
	v_add_f64 v[76:77], v[224:225], v[76:77]
	v_add_f64 v[74:75], v[94:95], v[74:75]
	v_mul_f64 v[94:95], v[92:93], s[26:27]
	v_add_f64 v[80:81], v[224:225], v[80:81]
	v_add_f64 v[76:77], v[96:97], v[76:77]
	v_fma_f64 v[96:97], s[24:25], v[68:69], v[94:95]
	v_fma_f64 v[94:95], v[68:69], s[24:25], -v[94:95]
	s_mov_b32 s29, 0x3fefac9e
	s_mov_b32 s28, s12
	v_add_f64 v[82:83], v[224:225], v[82:83]
	v_add_f64 v[80:81], v[94:95], v[80:81]
	v_mul_f64 v[94:95], v[92:93], s[28:29]
	s_mov_b32 s31, 0x3fe14ced
	s_mov_b32 s30, s16
	v_add_f64 v[4:5], v[224:225], v[178:179]
	v_add_f64 v[84:85], v[224:225], v[84:85]
	;; [unrolled: 1-line block ×3, first 2 shown]
	v_fma_f64 v[96:97], s[14:15], v[68:69], v[94:95]
	v_fma_f64 v[94:95], v[68:69], s[14:15], -v[94:95]
	v_mul_f64 v[92:93], v[92:93], s[30:31]
	v_add_f64 v[4:5], v[4:5], v[114:115]
	v_add_f64 v[6:7], v[224:225], v[6:7]
	;; [unrolled: 1-line block ×3, first 2 shown]
	v_fma_f64 v[94:95], s[0:1], v[68:69], v[92:93]
	v_fma_f64 v[68:69], v[68:69], s[0:1], -v[92:93]
	v_add_f64 v[78:79], v[78:79], -v[182:183]
	v_add_f64 v[4:5], v[4:5], v[88:89]
	v_add_f64 v[6:7], v[68:69], v[6:7]
	;; [unrolled: 1-line block ×3, first 2 shown]
	v_mul_f64 v[88:89], v[78:79], s[12:13]
	v_fma_f64 v[92:93], s[14:15], v[68:69], v[88:89]
	v_fma_f64 v[88:89], v[68:69], s[14:15], -v[88:89]
	v_add_f64 v[70:71], v[88:89], v[70:71]
	v_mul_f64 v[88:89], v[78:79], s[26:27]
	v_add_f64 v[72:73], v[92:93], v[72:73]
	v_fma_f64 v[92:93], s[24:25], v[68:69], v[88:89]
	v_fma_f64 v[88:89], v[68:69], s[24:25], -v[88:89]
	s_mov_b32 s7, 0x3fed1bb4
	v_add_f64 v[74:75], v[88:89], v[74:75]
	v_mul_f64 v[88:89], v[78:79], s[6:7]
	v_add_f64 v[76:77], v[92:93], v[76:77]
	v_fma_f64 v[92:93], s[10:11], v[68:69], v[88:89]
	v_fma_f64 v[88:89], v[68:69], s[10:11], -v[88:89]
	v_add_f64 v[80:81], v[88:89], v[80:81]
	v_mul_f64 v[88:89], v[78:79], s[16:17]
	v_add_f64 v[82:83], v[92:93], v[82:83]
	v_fma_f64 v[92:93], s[0:1], v[68:69], v[88:89]
	v_fma_f64 v[88:89], v[68:69], s[0:1], -v[88:89]
	v_mul_f64 v[78:79], v[78:79], s[18:19]
	v_add_f64 v[84:85], v[88:89], v[84:85]
	v_fma_f64 v[88:89], s[20:21], v[68:69], v[78:79]
	v_fma_f64 v[68:69], v[68:69], s[20:21], -v[78:79]
	v_add_f64 v[60:61], v[60:61], -v[206:207]
	v_add_f64 v[4:5], v[4:5], v[62:63]
	v_add_f64 v[6:7], v[68:69], v[6:7]
	;; [unrolled: 1-line block ×3, first 2 shown]
	v_mul_f64 v[68:69], v[60:61], s[18:19]
	v_fma_f64 v[78:79], s[20:21], v[62:63], v[68:69]
	v_fma_f64 v[68:69], v[62:63], s[20:21], -v[68:69]
	v_add_f64 v[68:69], v[68:69], v[70:71]
	v_mul_f64 v[70:71], v[60:61], s[28:29]
	v_add_f64 v[72:73], v[78:79], v[72:73]
	v_fma_f64 v[78:79], s[14:15], v[62:63], v[70:71]
	v_fma_f64 v[70:71], v[62:63], s[14:15], -v[70:71]
	v_add_f64 v[70:71], v[70:71], v[74:75]
	v_mul_f64 v[74:75], v[60:61], s[16:17]
	v_add_f64 v[76:77], v[78:79], v[76:77]
	;; [unrolled: 5-line block ×3, first 2 shown]
	v_fma_f64 v[82:83], s[24:25], v[62:63], v[80:81]
	v_fma_f64 v[80:81], v[62:63], s[24:25], -v[80:81]
	v_mul_f64 v[60:61], v[60:61], s[6:7]
	v_add_f64 v[80:81], v[80:81], v[84:85]
	v_fma_f64 v[84:85], s[10:11], v[62:63], v[60:61]
	v_fma_f64 v[60:61], v[62:63], s[10:11], -v[60:61]
	v_add_f64 v[62:63], v[64:65], -v[172:173]
	v_add_f64 v[6:7], v[60:61], v[6:7]
	v_add_f64 v[60:61], v[66:67], v[174:175]
	v_mul_f64 v[64:65], v[62:63], s[22:23]
	v_add_f64 v[4:5], v[4:5], v[66:67]
	v_fma_f64 v[66:67], s[24:25], v[60:61], v[64:65]
	v_fma_f64 v[64:65], v[60:61], s[24:25], -v[64:65]
	v_add_f64 v[64:65], v[64:65], v[68:69]
	v_mul_f64 v[68:69], v[62:63], s[30:31]
	v_add_f64 v[66:67], v[66:67], v[72:73]
	v_fma_f64 v[72:73], s[0:1], v[60:61], v[68:69]
	v_fma_f64 v[68:69], v[60:61], s[0:1], -v[68:69]
	;; [unrolled: 5-line block ×3, first 2 shown]
	v_add_f64 v[70:71], v[70:71], v[74:75]
	v_mul_f64 v[74:75], v[62:63], s[6:7]
	v_add_f64 v[4:5], v[4:5], v[174:175]
	v_add_f64 v[76:77], v[76:77], v[78:79]
	v_fma_f64 v[78:79], s[10:11], v[60:61], v[74:75]
	v_fma_f64 v[74:75], v[60:61], s[10:11], -v[74:75]
	v_mul_f64 v[62:63], v[62:63], s[12:13]
	v_add_f64 v[4:5], v[4:5], v[222:223]
	v_add_f64 v[86:87], v[224:225], v[86:87]
	v_add_f64 v[90:91], v[224:225], v[90:91]
	v_add_f64 v[74:75], v[74:75], v[80:81]
	v_fma_f64 v[80:81], s[14:15], v[60:61], v[62:63]
	v_fma_f64 v[60:61], v[60:61], s[14:15], -v[62:63]
	v_add_f64 v[4:5], v[4:5], v[184:185]
	v_add_f64 v[86:87], v[96:97], v[86:87]
	;; [unrolled: 1-line block ×4, first 2 shown]
	v_mov_b32_e32 v61, 3
	v_add_f64 v[4:5], v[4:5], v[198:199]
	v_add_f64 v[86:87], v[92:93], v[86:87]
	;; [unrolled: 1-line block ×3, first 2 shown]
	v_mul_u32_u24_e32 v60, 0x268, v210
	v_lshlrev_b32_sdwa v61, v61, v211 dst_sel:DWORD dst_unused:UNUSED_PAD src0_sel:DWORD src1_sel:BYTE_0
	v_add_f64 v[4:5], v[4:5], v[202:203]
	v_add_f64 v[82:83], v[82:83], v[86:87]
	;; [unrolled: 1-line block ×3, first 2 shown]
	v_add3_u32 v60, 0, v60, v61
	v_add_f64 v[78:79], v[78:79], v[82:83]
	v_add_f64 v[80:81], v[80:81], v[84:85]
	ds_write2_b64 v60, v[4:5], v[66:67] offset1:7
	ds_write2_b64 v60, v[72:73], v[76:77] offset0:14 offset1:21
	ds_write2_b64 v60, v[78:79], v[80:81] offset0:28 offset1:35
	;; [unrolled: 1-line block ×4, first 2 shown]
	ds_write_b64 v60, v[64:65] offset:560
.LBB0_21:
	s_or_b64 exec, exec, s[2:3]
	v_lshlrev_b32_e32 v180, 2, v122
	v_mov_b32_e32 v181, 0
	v_subrev_u32_e32 v4, 22, v122
	v_cmp_gt_u32_e64 s[0:1], 22, v122
	v_accvgpr_read_b32 v5, a3
	v_lshl_add_u64 v[194:195], v[180:181], 4, s[4:5]
	v_cndmask_b32_e64 v4, v4, v5, s[0:1]
	s_waitcnt lgkmcnt(0)
	; wave barrier
	s_waitcnt lgkmcnt(0)
	global_load_dwordx4 v[72:75], v[194:195], off offset:1120
	global_load_dwordx4 v[68:71], v[194:195], off offset:1152
	v_lshlrev_b32_e32 v180, 2, v4
	v_accvgpr_write_b32 a14, v4
	v_lshl_add_u64 v[4:5], v[180:181], 4, s[4:5]
	global_load_dwordx4 v[104:107], v[4:5], off offset:1120
	global_load_dwordx4 v[100:103], v[4:5], off offset:1136
	;; [unrolled: 1-line block ×4, first 2 shown]
	s_movk_i32 s0, 0xd5
	v_mov_b32_e32 v5, v142
	v_accvgpr_read_b32 v6, a2
	v_accvgpr_write_b32 a15, v5
	v_mul_lo_u16_sdwa v5, v6, s0 dst_sel:DWORD dst_unused:UNUSED_PAD src0_sel:BYTE_0 src1_sel:DWORD
	v_lshrrev_b16_e32 v7, 14, v5
	v_mul_lo_u16_e32 v5, 0x4d, v7
	v_mov_b32_e32 v4, 6
	v_sub_u16_e32 v5, v6, v5
	v_lshlrev_b32_sdwa v4, v4, v5 dst_sel:DWORD dst_unused:UNUSED_PAD src0_sel:DWORD src1_sel:BYTE_0
	global_load_dwordx4 v[88:91], v4, s[4:5] offset:1136
	v_accvgpr_read_b32 v6, a4
	v_accvgpr_write_b32 a18, v5
	v_mul_lo_u16_sdwa v5, v6, s0 dst_sel:DWORD dst_unused:UNUSED_PAD src0_sel:BYTE_0 src1_sel:DWORD
	v_lshrrev_b16_e32 v5, 14, v5
	v_mul_lo_u16_e32 v5, 0x4d, v5
	v_sub_u16_e32 v5, v6, v5
	ds_read2_b64 v[142:145], v142 offset0:129 offset1:184
	ds_read2_b64 v[64:67], v148 offset0:75 offset1:130
	v_accvgpr_write_b32 a16, v148
	ds_read2_b64 v[148:151], v147 offset0:131 offset1:186
	ds_read2_b64 v[60:63], v153 offset0:77 offset1:132
	;; [unrolled: 1-line block ×3, first 2 shown]
	global_load_dwordx4 v[84:87], v4, s[4:5] offset:1168
	v_and_b32_e32 v6, 0xff, v5
	ds_read2_b64 v[92:95], v231 offset0:59 offset1:114
	ds_read_b64 v[136:137], v123
	ds_read_b64 v[134:135], v146
	global_load_dwordx4 v[196:199], v4, s[4:5] offset:1120
	v_lshlrev_b32_e32 v5, 6, v6
	v_accvgpr_write_b32 a21, v6
	v_mov_b32_e32 v6, v152
	s_movk_i32 s0, 0x1a99
	v_add_u32_e32 v158, 0x113, v122
	v_add_u32_e32 v139, 0x14a, v122
	v_accvgpr_write_b32 a7, v123
	global_load_dwordx4 v[120:123], v5, s[4:5] offset:1136
	global_load_dwordx4 v[200:203], v5, s[4:5] offset:1120
	ds_read2_b64 v[218:221], v162 offset0:111 offset1:166
	ds_read2_b64 v[116:119], v163 offset0:113 offset1:168
	v_accvgpr_write_b32 a20, v153
	ds_read_b64 v[152:153], v141
	ds_read2_b64 v[112:115], v6 offset0:167 offset1:222
	v_accvgpr_write_b32 a19, v6
	v_mul_u32_u24_sdwa v6, v140, s0 dst_sel:DWORD dst_unused:UNUSED_PAD src0_sel:WORD_0 src1_sel:DWORD
	v_accvgpr_write_b32 a17, v7
	global_load_dwordx4 v[232:235], v[194:195], off offset:1136
	v_mul_u32_u24_sdwa v7, v158, s0 dst_sel:DWORD dst_unused:UNUSED_PAD src0_sel:WORD_0 src1_sel:DWORD
	v_lshrrev_b32_e32 v138, 19, v6
	ds_read2_b64 v[108:111], v231 offset0:169 offset1:224
	ds_read_b64 v[156:157], v230
	ds_read_b64 v[154:155], v166
	global_load_dwordx4 v[236:239], v[194:195], off offset:1168
	global_load_dwordx4 v[240:243], v4, s[4:5] offset:1152
	v_lshrrev_b32_e32 v6, 19, v7
	v_mul_lo_u16_e32 v4, 0x4d, v138
	v_accvgpr_write_b32 a27, v138
	v_mul_lo_u16_e32 v138, 0x4d, v6
	v_accvgpr_write_b32 a26, v6
	v_sub_u16_e32 v6, v140, v4
	v_lshlrev_b32_e32 v4, 6, v6
	global_load_dwordx4 v[244:247], v5, s[4:5] offset:1168
	global_load_dwordx4 v[248:251], v5, s[4:5] offset:1152
	;; [unrolled: 1-line block ×6, first 2 shown]
	v_accvgpr_write_b32 a28, v6
	v_accvgpr_write_b32 a8, v146
	v_mov_b32_e32 v180, v147
	v_accvgpr_mov_b32 a5, a2
	v_accvgpr_write_b32 a2, v158
	v_accvgpr_write_b32 a31, v163
	v_accvgpr_mov_b32 a9, a4
	v_accvgpr_write_b32 a4, v166
	v_accvgpr_write_b32 a30, v167
	;; [unrolled: 1-line block ×5, first 2 shown]
	s_mov_b32 s2, 0x134454ff
	s_mov_b32 s3, 0x3fee6f0e
	;; [unrolled: 1-line block ×9, first 2 shown]
	s_waitcnt vmcnt(19) lgkmcnt(14)
	v_mul_f64 v[4:5], v[142:143], v[74:75]
	v_mul_f64 v[174:175], v[56:57], v[74:75]
	s_waitcnt vmcnt(18) lgkmcnt(12)
	v_mul_f64 v[6:7], v[148:149], v[70:71]
	v_fma_f64 v[56:57], v[56:57], v[72:73], -v[4:5]
	s_waitcnt vmcnt(17)
	v_mul_f64 v[4:5], v[144:145], v[106:107]
	v_mul_f64 v[176:177], v[52:53], v[70:71]
	v_fma_f64 v[178:179], v[52:53], v[68:69], -v[6:7]
	s_waitcnt vmcnt(16) lgkmcnt(10)
	v_mul_f64 v[6:7], v[96:97], v[102:103]
	v_fma_f64 v[146:147], v[58:59], v[104:105], -v[4:5]
	v_sub_u16_e32 v4, v158, v138
	v_fmac_f64_e32 v[176:177], v[148:149], v[68:69]
	v_fma_f64 v[148:149], v[48:49], v[100:101], -v[6:7]
	v_lshlrev_b32_e32 v6, 6, v4
	v_accvgpr_write_b32 a29, v4
	s_waitcnt vmcnt(14) lgkmcnt(9)
	v_mul_f64 v[4:5], v[92:93], v[78:79]
	v_fma_f64 v[170:171], v[44:45], v[76:77], -v[4:5]
	v_mul_u32_u24_sdwa v4, v139, s0 dst_sel:DWORD dst_unused:UNUSED_PAD src0_sel:WORD_0 src1_sel:DWORD
	global_load_dwordx4 v[226:229], v6, s[4:5] offset:1136
	global_load_dwordx4 v[190:193], v6, s[4:5] offset:1120
	v_lshrrev_b32_e32 v4, 19, v4
	v_fmac_f64_e32 v[174:175], v[142:143], v[72:73]
	v_mul_f64 v[142:143], v[48:49], v[102:103]
	v_mul_f64 v[52:53], v[150:151], v[82:83]
	v_mul_lo_u16_e32 v4, 0x4d, v4
	v_mul_f64 v[106:107], v[58:59], v[106:107]
	v_fmac_f64_e32 v[142:143], v[96:97], v[100:101]
	v_fma_f64 v[164:165], v[54:55], v[80:81], -v[52:53]
	v_mul_f64 v[100:101], v[54:55], v[82:83]
	global_load_dwordx4 v[222:225], v6, s[4:5] offset:1168
	global_load_dwordx4 v[52:55], v6, s[4:5] offset:1152
	v_sub_u16_e32 v58, v139, v4
	v_lshlrev_b32_e32 v48, 6, v58
	global_load_dwordx4 v[4:7], v48, s[4:5] offset:1136
	global_load_dwordx4 v[182:185], v48, s[4:5] offset:1120
	v_fmac_f64_e32 v[106:107], v[144:145], v[104:105]
	v_mul_f64 v[158:159], v[44:45], v[78:79]
	s_waitcnt vmcnt(19)
	v_mul_f64 v[44:45], v[98:99], v[90:91]
	v_mul_f64 v[144:145], v[50:51], v[90:91]
	v_mov_b32_e32 v59, v162
	v_fma_f64 v[162:163], v[50:51], v[88:89], -v[44:45]
	v_fmac_f64_e32 v[144:145], v[98:99], v[88:89]
	global_load_dwordx4 v[88:91], v48, s[4:5] offset:1168
	global_load_dwordx4 v[186:189], v48, s[4:5] offset:1152
	s_waitcnt vmcnt(20)
	v_mul_f64 v[44:45], v[94:95], v[86:87]
	v_fmac_f64_e32 v[100:101], v[150:151], v[80:81]
	v_fmac_f64_e32 v[158:159], v[92:93], v[76:77]
	ds_read2_b64 v[76:79], v167 offset0:93 offset1:148
	v_fma_f64 v[166:167], v[46:47], v[84:85], -v[44:45]
	v_mul_f64 v[150:151], v[46:47], v[86:87]
	s_waitcnt vmcnt(19) lgkmcnt(7)
	v_mul_f64 v[44:45], v[218:219], v[198:199]
	v_fmac_f64_e32 v[150:151], v[94:95], v[84:85]
	v_fma_f64 v[94:95], v[40:41], v[196:197], -v[44:45]
	v_mul_f64 v[160:161], v[40:41], v[198:199]
	s_waitcnt vmcnt(17)
	v_mul_f64 v[40:41], v[220:221], v[202:203]
	v_fma_f64 v[102:103], v[42:43], v[200:201], -v[40:41]
	s_waitcnt vmcnt(16)
	v_mul_f64 v[40:41], v[66:67], v[234:235]
	v_fma_f64 v[98:99], v[10:11], v[232:233], -v[40:41]
	s_waitcnt vmcnt(14) lgkmcnt(6)
	v_mul_f64 v[40:41], v[116:117], v[242:243]
	ds_read2_b64 v[138:141], v168 offset0:95 offset1:150
	v_fmac_f64_e32 v[160:161], v[218:219], v[196:197]
	ds_read2_b64 v[44:47], v169 offset0:19 offset1:74
	v_fma_f64 v[172:173], v[36:37], v[240:241], -v[40:41]
	v_mov_b32_e32 v218, v168
	v_mov_b32_e32 v219, v169
	v_mul_f64 v[168:169], v[36:37], v[242:243]
	s_waitcnt lgkmcnt(6)
	v_mul_f64 v[36:37], v[112:113], v[122:123]
	v_fmac_f64_e32 v[168:169], v[116:117], v[240:241]
	v_fma_f64 v[116:117], v[32:33], v[120:121], -v[36:37]
	v_mul_f64 v[96:97], v[32:33], v[122:123]
	s_waitcnt vmcnt(12)
	v_mul_f64 v[32:33], v[118:119], v[250:251]
	v_fmac_f64_e32 v[96:97], v[112:113], v[120:121]
	v_fma_f64 v[120:121], v[38:39], v[248:249], -v[32:33]
	v_mul_f64 v[104:105], v[38:39], v[250:251]
	s_waitcnt lgkmcnt(5)
	v_mul_f64 v[32:33], v[108:109], v[246:247]
	v_mul_f64 v[92:93], v[42:43], v[202:203]
	ds_read2_b64 v[196:199], v180 offset0:21 offset1:76
	v_fmac_f64_e32 v[104:105], v[118:119], v[248:249]
	v_fma_f64 v[118:119], v[24:25], v[244:245], -v[32:33]
	v_mul_f64 v[112:113], v[24:25], v[246:247]
	s_waitcnt vmcnt(8) lgkmcnt(3)
	v_mul_f64 v[24:25], v[76:77], v[214:215]
	v_fmac_f64_e32 v[92:93], v[220:221], v[200:201]
	v_mul_f64 v[200:201], v[10:11], v[234:235]
	v_accvgpr_read_b32 v220, a12
	v_fma_f64 v[80:81], v[28:29], v[212:213], -v[24:25]
	v_mul_f64 v[24:25], v[114:115], v[210:211]
	v_fmac_f64_e32 v[200:201], v[66:67], v[232:233]
	ds_read2_b64 v[66:69], v220 offset0:23 offset1:78
	v_fma_f64 v[82:83], v[34:35], v[208:209], -v[24:25]
	s_waitcnt lgkmcnt(3)
	v_mul_f64 v[24:25], v[138:139], v[206:207]
	v_fma_f64 v[84:85], v[20:21], v[204:205], -v[24:25]
	v_mul_f64 v[74:75], v[20:21], v[206:207]
	v_mul_f64 v[20:21], v[110:111], v[254:255]
	v_fma_f64 v[86:87], v[26:27], v[252:253], -v[20:21]
	v_mul_f64 v[72:73], v[34:35], v[210:211]
	v_mul_f64 v[70:71], v[28:29], v[214:215]
	v_accvgpr_read_b32 v235, a25
	v_fmac_f64_e32 v[70:71], v[76:77], v[212:213]
	v_mul_f64 v[76:77], v[26:27], v[254:255]
	v_accvgpr_read_b32 v233, a23
	s_waitcnt vmcnt(7)
	v_mul_f64 v[34:35], v[16:17], v[228:229]
	s_waitcnt vmcnt(6)
	v_mul_f64 v[20:21], v[78:79], v[192:193]
	v_fma_f64 v[42:43], v[30:31], v[190:191], -v[20:21]
	s_waitcnt lgkmcnt(1)
	v_mul_f64 v[20:21], v[196:197], v[228:229]
	v_fma_f64 v[48:49], v[16:17], v[226:227], -v[20:21]
	v_accvgpr_read_b32 v232, a22
	v_mul_f64 v[32:33], v[30:31], v[192:193]
	v_mul_f64 v[10:11], v[62:63], v[238:239]
	v_accvgpr_read_b32 v234, a24
	v_fma_f64 v[10:11], v[234:235], v[236:237], -v[10:11]
	s_waitcnt vmcnt(5)
	v_mul_f64 v[40:41], v[12:13], v[224:225]
	s_waitcnt vmcnt(4)
	v_mul_f64 v[16:17], v[140:141], v[54:55]
	v_fma_f64 v[50:51], v[22:23], v[52:53], -v[16:17]
	v_mul_f64 v[36:37], v[22:23], v[54:55]
	s_waitcnt lgkmcnt(0)
	v_mul_f64 v[16:17], v[66:67], v[224:225]
	v_fmac_f64_e32 v[36:37], v[140:141], v[52:53]
	v_fma_f64 v[52:53], v[12:13], v[222:223], -v[16:17]
	s_waitcnt vmcnt(2)
	v_mul_f64 v[12:13], v[64:65], v[184:185]
	v_fma_f64 v[24:25], v[8:9], v[182:183], -v[12:13]
	v_mul_f64 v[12:13], v[198:199], v[6:7]
	v_fma_f64 v[26:27], v[18:19], v[4:5], -v[12:13]
	v_mul_f64 v[12:13], v[18:19], v[6:7]
	v_fmac_f64_e32 v[12:13], v[198:199], v[4:5]
	s_waitcnt vmcnt(0)
	v_mul_f64 v[4:5], v[60:61], v[188:189]
	v_fma_f64 v[28:29], v[232:233], v[186:187], -v[4:5]
	v_mul_f64 v[4:5], v[68:69], v[90:91]
	v_fma_f64 v[30:31], v[14:15], v[88:89], -v[4:5]
	v_add_f64 v[4:5], v[130:131], v[56:57]
	v_add_f64 v[4:5], v[4:5], v[98:99]
	v_mul_f64 v[202:203], v[234:235], v[238:239]
	v_add_f64 v[4:5], v[4:5], v[178:179]
	v_fmac_f64_e32 v[202:203], v[62:63], v[236:237]
	v_mul_f64 v[20:21], v[14:15], v[90:91]
	v_add_f64 v[14:15], v[4:5], v[10:11]
	v_add_f64 v[4:5], v[98:99], v[178:179]
	v_fma_f64 v[16:17], -0.5, v[4:5], v[130:131]
	v_add_f64 v[4:5], v[174:175], -v[202:203]
	v_fma_f64 v[22:23], s[2:3], v[4:5], v[16:17]
	v_add_f64 v[6:7], v[200:201], -v[176:177]
	v_add_f64 v[38:39], v[56:57], -v[98:99]
	;; [unrolled: 1-line block ×3, first 2 shown]
	v_fmac_f64_e32 v[16:17], s[12:13], v[4:5]
	v_fmac_f64_e32 v[22:23], s[6:7], v[6:7]
	v_add_f64 v[38:39], v[38:39], v[54:55]
	s_mov_b32 s11, 0x3fd3c6ef
	v_fmac_f64_e32 v[16:17], s[14:15], v[6:7]
	v_fmac_f64_e32 v[22:23], s[10:11], v[38:39]
	;; [unrolled: 1-line block ×3, first 2 shown]
	v_add_f64 v[38:39], v[56:57], v[10:11]
	v_mul_f64 v[18:19], v[232:233], v[188:189]
	v_fmac_f64_e32 v[130:131], -0.5, v[38:39]
	v_fmac_f64_e32 v[18:19], v[60:61], v[186:187]
	v_fma_f64 v[38:39], s[12:13], v[6:7], v[130:131]
	v_add_f64 v[54:55], v[98:99], -v[56:57]
	v_add_f64 v[60:61], v[178:179], -v[10:11]
	v_fmac_f64_e32 v[130:131], s[2:3], v[6:7]
	v_fmac_f64_e32 v[38:39], s[6:7], v[4:5]
	v_add_f64 v[54:55], v[54:55], v[60:61]
	v_fmac_f64_e32 v[130:131], s[14:15], v[4:5]
	v_add_f64 v[6:7], v[200:201], v[176:177]
	v_fmac_f64_e32 v[38:39], s[10:11], v[54:55]
	v_fmac_f64_e32 v[130:131], s[10:11], v[54:55]
	v_fma_f64 v[6:7], -0.5, v[6:7], v[156:157]
	v_add_f64 v[54:55], v[56:57], -v[10:11]
	v_fma_f64 v[10:11], s[12:13], v[54:55], v[6:7]
	v_add_f64 v[60:61], v[98:99], -v[178:179]
	v_add_f64 v[56:57], v[174:175], -v[200:201]
	;; [unrolled: 1-line block ×3, first 2 shown]
	v_fmac_f64_e32 v[6:7], s[2:3], v[54:55]
	v_fmac_f64_e32 v[10:11], s[14:15], v[60:61]
	v_add_f64 v[56:57], v[56:57], v[62:63]
	v_fmac_f64_e32 v[6:7], s[6:7], v[60:61]
	v_fmac_f64_e32 v[10:11], s[10:11], v[56:57]
	;; [unrolled: 1-line block ×3, first 2 shown]
	v_add_f64 v[56:57], v[174:175], v[202:203]
	v_mul_f64 v[8:9], v[8:9], v[184:185]
	v_add_f64 v[4:5], v[156:157], v[174:175]
	v_fmac_f64_e32 v[156:157], -0.5, v[56:57]
	v_fmac_f64_e32 v[8:9], v[64:65], v[182:183]
	v_fma_f64 v[56:57], s[2:3], v[60:61], v[156:157]
	v_add_f64 v[62:63], v[200:201], -v[174:175]
	v_add_f64 v[64:65], v[176:177], -v[202:203]
	v_fmac_f64_e32 v[156:157], s[12:13], v[60:61]
	v_add_f64 v[60:61], v[148:149], v[164:165]
	v_fmac_f64_e32 v[40:41], v[66:67], v[222:223]
	v_fmac_f64_e32 v[56:57], s[14:15], v[54:55]
	v_add_f64 v[62:63], v[62:63], v[64:65]
	v_fmac_f64_e32 v[156:157], s[6:7], v[54:55]
	v_fma_f64 v[66:67], -0.5, v[60:61], v[132:133]
	v_add_f64 v[60:61], v[106:107], -v[158:159]
	v_fmac_f64_e32 v[32:33], v[78:79], v[190:191]
	v_fmac_f64_e32 v[20:21], v[68:69], v[88:89]
	;; [unrolled: 1-line block ×4, first 2 shown]
	v_fma_f64 v[68:69], s[2:3], v[60:61], v[66:67]
	v_add_f64 v[62:63], v[142:143], -v[100:101]
	v_add_f64 v[64:65], v[146:147], -v[148:149]
	v_add_f64 v[78:79], v[170:171], -v[164:165]
	v_fmac_f64_e32 v[66:67], s[12:13], v[60:61]
	v_fmac_f64_e32 v[68:69], s[6:7], v[62:63]
	v_add_f64 v[64:65], v[64:65], v[78:79]
	v_fmac_f64_e32 v[66:67], s[14:15], v[62:63]
	v_fmac_f64_e32 v[68:69], s[10:11], v[64:65]
	;; [unrolled: 1-line block ×3, first 2 shown]
	v_add_f64 v[64:65], v[146:147], v[170:171]
	v_add_f64 v[54:55], v[132:133], v[146:147]
	v_fmac_f64_e32 v[132:133], -0.5, v[64:65]
	v_fma_f64 v[78:79], s[12:13], v[62:63], v[132:133]
	v_fmac_f64_e32 v[132:133], s[2:3], v[62:63]
	v_fmac_f64_e32 v[78:79], s[6:7], v[60:61]
	;; [unrolled: 1-line block ×3, first 2 shown]
	v_add_f64 v[60:61], v[136:137], v[106:107]
	v_add_f64 v[60:61], v[60:61], v[142:143]
	;; [unrolled: 1-line block ×3, first 2 shown]
	v_add_f64 v[64:65], v[148:149], -v[146:147]
	v_add_f64 v[88:89], v[164:165], -v[170:171]
	v_add_f64 v[174:175], v[60:61], v[158:159]
	v_add_f64 v[60:61], v[142:143], v[100:101]
	;; [unrolled: 1-line block ×3, first 2 shown]
	v_fma_f64 v[60:61], -0.5, v[60:61], v[136:137]
	v_add_f64 v[88:89], v[146:147], -v[170:171]
	v_fmac_f64_e32 v[78:79], s[10:11], v[64:65]
	v_fmac_f64_e32 v[132:133], s[10:11], v[64:65]
	v_fma_f64 v[62:63], s[12:13], v[88:89], v[60:61]
	v_add_f64 v[90:91], v[148:149], -v[164:165]
	v_add_f64 v[64:65], v[106:107], -v[142:143]
	;; [unrolled: 1-line block ×3, first 2 shown]
	v_fmac_f64_e32 v[60:61], s[2:3], v[88:89]
	v_fmac_f64_e32 v[62:63], s[14:15], v[90:91]
	v_add_f64 v[64:65], v[64:65], v[98:99]
	v_fmac_f64_e32 v[60:61], s[6:7], v[90:91]
	v_fmac_f64_e32 v[62:63], s[10:11], v[64:65]
	;; [unrolled: 1-line block ×3, first 2 shown]
	v_add_f64 v[64:65], v[106:107], v[158:159]
	v_fmac_f64_e32 v[136:137], -0.5, v[64:65]
	v_fma_f64 v[64:65], s[2:3], v[90:91], v[136:137]
	v_fmac_f64_e32 v[136:137], s[12:13], v[90:91]
	v_fmac_f64_e32 v[64:65], s[14:15], v[88:89]
	;; [unrolled: 1-line block ×3, first 2 shown]
	v_add_f64 v[88:89], v[126:127], v[94:95]
	v_add_f64 v[98:99], v[142:143], -v[106:107]
	v_add_f64 v[100:101], v[100:101], -v[158:159]
	v_add_f64 v[88:89], v[88:89], v[162:163]
	v_add_f64 v[98:99], v[98:99], v[100:101]
	;; [unrolled: 1-line block ×3, first 2 shown]
	v_fmac_f64_e32 v[64:65], s[10:11], v[98:99]
	v_fmac_f64_e32 v[136:137], s[10:11], v[98:99]
	v_add_f64 v[98:99], v[88:89], v[166:167]
	v_add_f64 v[88:89], v[162:163], v[172:173]
	v_fma_f64 v[100:101], -0.5, v[88:89], v[126:127]
	v_add_f64 v[88:89], v[160:161], -v[150:151]
	v_fmac_f64_e32 v[112:113], v[108:109], v[244:245]
	v_fmac_f64_e32 v[76:77], v[110:111], v[252:253]
	v_fma_f64 v[106:107], s[2:3], v[88:89], v[100:101]
	v_add_f64 v[90:91], v[144:145], -v[168:169]
	v_add_f64 v[108:109], v[94:95], -v[162:163]
	v_add_f64 v[110:111], v[166:167], -v[172:173]
	v_fmac_f64_e32 v[100:101], s[12:13], v[88:89]
	v_fmac_f64_e32 v[106:107], s[6:7], v[90:91]
	v_add_f64 v[108:109], v[108:109], v[110:111]
	v_fmac_f64_e32 v[100:101], s[14:15], v[90:91]
	v_fmac_f64_e32 v[106:107], s[10:11], v[108:109]
	;; [unrolled: 1-line block ×3, first 2 shown]
	v_add_f64 v[108:109], v[94:95], v[166:167]
	v_fmac_f64_e32 v[126:127], -0.5, v[108:109]
	v_fmac_f64_e32 v[72:73], v[114:115], v[208:209]
	v_fma_f64 v[108:109], s[12:13], v[90:91], v[126:127]
	v_add_f64 v[110:111], v[162:163], -v[94:95]
	v_add_f64 v[114:115], v[172:173], -v[166:167]
	v_fmac_f64_e32 v[126:127], s[2:3], v[90:91]
	v_add_f64 v[90:91], v[144:145], v[168:169]
	v_fmac_f64_e32 v[108:109], s[6:7], v[88:89]
	v_add_f64 v[110:111], v[110:111], v[114:115]
	v_fmac_f64_e32 v[126:127], s[14:15], v[88:89]
	v_fma_f64 v[90:91], -0.5, v[90:91], v[134:135]
	v_add_f64 v[114:115], v[94:95], -v[166:167]
	v_fmac_f64_e32 v[74:75], v[138:139], v[204:205]
	v_fmac_f64_e32 v[108:109], s[10:11], v[110:111]
	;; [unrolled: 1-line block ×3, first 2 shown]
	v_fma_f64 v[94:95], s[12:13], v[114:115], v[90:91]
	v_add_f64 v[122:123], v[162:163], -v[172:173]
	v_add_f64 v[110:111], v[160:161], -v[144:145]
	;; [unrolled: 1-line block ×3, first 2 shown]
	v_fmac_f64_e32 v[90:91], s[2:3], v[114:115]
	v_fmac_f64_e32 v[94:95], s[14:15], v[122:123]
	v_add_f64 v[110:111], v[110:111], v[138:139]
	v_fmac_f64_e32 v[90:91], s[6:7], v[122:123]
	v_fmac_f64_e32 v[94:95], s[10:11], v[110:111]
	;; [unrolled: 1-line block ×3, first 2 shown]
	v_add_f64 v[110:111], v[160:161], v[150:151]
	v_add_f64 v[88:89], v[134:135], v[160:161]
	v_fmac_f64_e32 v[134:135], -0.5, v[110:111]
	v_fma_f64 v[110:111], s[2:3], v[122:123], v[134:135]
	v_fmac_f64_e32 v[134:135], s[12:13], v[122:123]
	v_fmac_f64_e32 v[110:111], s[14:15], v[114:115]
	;; [unrolled: 1-line block ×3, first 2 shown]
	v_add_f64 v[114:115], v[128:129], v[102:103]
	v_add_f64 v[114:115], v[114:115], v[116:117]
	;; [unrolled: 1-line block ×3, first 2 shown]
	v_add_f64 v[138:139], v[144:145], -v[160:161]
	v_add_f64 v[140:141], v[168:169], -v[150:151]
	v_add_f64 v[142:143], v[114:115], v[118:119]
	v_add_f64 v[114:115], v[116:117], v[120:121]
	;; [unrolled: 1-line block ×4, first 2 shown]
	v_fma_f64 v[144:145], -0.5, v[114:115], v[128:129]
	v_add_f64 v[114:115], v[92:93], -v[112:113]
	v_fmac_f64_e32 v[110:111], s[10:11], v[138:139]
	v_fmac_f64_e32 v[134:135], s[10:11], v[138:139]
	v_fma_f64 v[146:147], s[2:3], v[114:115], v[144:145]
	v_add_f64 v[122:123], v[96:97], -v[104:105]
	v_add_f64 v[138:139], v[102:103], -v[116:117]
	;; [unrolled: 1-line block ×3, first 2 shown]
	v_fmac_f64_e32 v[144:145], s[12:13], v[114:115]
	v_fmac_f64_e32 v[146:147], s[6:7], v[122:123]
	v_add_f64 v[138:139], v[138:139], v[140:141]
	v_fmac_f64_e32 v[144:145], s[14:15], v[122:123]
	v_fmac_f64_e32 v[146:147], s[10:11], v[138:139]
	;; [unrolled: 1-line block ×3, first 2 shown]
	v_add_f64 v[138:139], v[102:103], v[118:119]
	v_fmac_f64_e32 v[128:129], -0.5, v[138:139]
	v_add_f64 v[54:55], v[54:55], v[148:149]
	v_fma_f64 v[148:149], s[12:13], v[122:123], v[128:129]
	v_add_f64 v[138:139], v[116:117], -v[102:103]
	v_add_f64 v[140:141], v[120:121], -v[118:119]
	v_fmac_f64_e32 v[128:129], s[2:3], v[122:123]
	v_add_f64 v[122:123], v[96:97], v[104:105]
	v_fmac_f64_e32 v[148:149], s[6:7], v[114:115]
	v_add_f64 v[138:139], v[138:139], v[140:141]
	v_fmac_f64_e32 v[128:129], s[14:15], v[114:115]
	v_fma_f64 v[122:123], -0.5, v[122:123], v[152:153]
	v_add_f64 v[102:103], v[102:103], -v[118:119]
	v_fmac_f64_e32 v[148:149], s[10:11], v[138:139]
	v_fmac_f64_e32 v[128:129], s[10:11], v[138:139]
	v_fma_f64 v[118:119], s[12:13], v[102:103], v[122:123]
	v_add_f64 v[120:121], v[116:117], -v[120:121]
	v_add_f64 v[116:117], v[92:93], -v[96:97]
	;; [unrolled: 1-line block ×3, first 2 shown]
	v_fmac_f64_e32 v[122:123], s[2:3], v[102:103]
	v_fmac_f64_e32 v[118:119], s[14:15], v[120:121]
	v_add_f64 v[116:117], v[116:117], v[138:139]
	v_fmac_f64_e32 v[122:123], s[6:7], v[120:121]
	v_fmac_f64_e32 v[118:119], s[10:11], v[116:117]
	;; [unrolled: 1-line block ×3, first 2 shown]
	v_add_f64 v[116:117], v[92:93], v[112:113]
	v_add_f64 v[114:115], v[152:153], v[92:93]
	v_fmac_f64_e32 v[152:153], -0.5, v[116:117]
	v_add_f64 v[114:115], v[114:115], v[96:97]
	v_fma_f64 v[116:117], s[2:3], v[120:121], v[152:153]
	v_add_f64 v[92:93], v[96:97], -v[92:93]
	v_add_f64 v[96:97], v[104:105], -v[112:113]
	v_fmac_f64_e32 v[152:153], s[12:13], v[120:121]
	v_fmac_f64_e32 v[116:117], s[14:15], v[102:103]
	v_add_f64 v[92:93], v[92:93], v[96:97]
	v_fmac_f64_e32 v[152:153], s[6:7], v[102:103]
	v_fmac_f64_e32 v[116:117], s[10:11], v[92:93]
	;; [unrolled: 1-line block ×3, first 2 shown]
	v_add_f64 v[92:93], v[124:125], v[80:81]
	v_add_f64 v[92:93], v[92:93], v[82:83]
	;; [unrolled: 1-line block ×6, first 2 shown]
	v_fma_f64 v[104:105], -0.5, v[92:93], v[124:125]
	v_add_f64 v[92:93], v[70:71], -v[76:77]
	v_add_f64 v[114:115], v[114:115], v[112:113]
	v_fma_f64 v[120:121], s[2:3], v[92:93], v[104:105]
	v_add_f64 v[96:97], v[72:73], -v[74:75]
	v_add_f64 v[112:113], v[80:81], -v[82:83]
	;; [unrolled: 1-line block ×3, first 2 shown]
	v_fmac_f64_e32 v[104:105], s[12:13], v[92:93]
	v_fmac_f64_e32 v[120:121], s[6:7], v[96:97]
	v_add_f64 v[112:113], v[112:113], v[138:139]
	v_fmac_f64_e32 v[104:105], s[14:15], v[96:97]
	v_fmac_f64_e32 v[120:121], s[10:11], v[112:113]
	v_fmac_f64_e32 v[104:105], s[10:11], v[112:113]
	v_add_f64 v[112:113], v[80:81], v[86:87]
	v_fmac_f64_e32 v[124:125], -0.5, v[112:113]
	v_fma_f64 v[138:139], s[12:13], v[96:97], v[124:125]
	v_add_f64 v[112:113], v[82:83], -v[80:81]
	v_add_f64 v[140:141], v[84:85], -v[86:87]
	v_fmac_f64_e32 v[124:125], s[2:3], v[96:97]
	v_add_f64 v[96:97], v[72:73], v[74:75]
	v_fmac_f64_e32 v[138:139], s[6:7], v[92:93]
	v_add_f64 v[112:113], v[112:113], v[140:141]
	v_fmac_f64_e32 v[124:125], s[14:15], v[92:93]
	v_fma_f64 v[96:97], -0.5, v[96:97], v[154:155]
	v_add_f64 v[80:81], v[80:81], -v[86:87]
	v_fmac_f64_e32 v[138:139], s[10:11], v[112:113]
	v_fmac_f64_e32 v[124:125], s[10:11], v[112:113]
	v_fma_f64 v[112:113], s[12:13], v[80:81], v[96:97]
	v_add_f64 v[82:83], v[82:83], -v[84:85]
	v_add_f64 v[84:85], v[70:71], -v[72:73]
	;; [unrolled: 1-line block ×3, first 2 shown]
	v_fmac_f64_e32 v[96:97], s[2:3], v[80:81]
	v_add_f64 v[92:93], v[154:155], v[70:71]
	v_fmac_f64_e32 v[112:113], s[14:15], v[82:83]
	v_add_f64 v[84:85], v[84:85], v[86:87]
	;; [unrolled: 2-line block ×3, first 2 shown]
	v_fmac_f64_e32 v[112:113], s[10:11], v[84:85]
	v_fmac_f64_e32 v[96:97], s[10:11], v[84:85]
	v_add_f64 v[84:85], v[70:71], v[76:77]
	v_add_f64 v[70:71], v[72:73], -v[70:71]
	v_add_f64 v[72:73], v[74:75], -v[76:77]
	v_fmac_f64_e32 v[154:155], -0.5, v[84:85]
	v_add_f64 v[70:71], v[70:71], v[72:73]
	v_add_f64 v[72:73], v[48:49], v[50:51]
	v_fmac_f64_e32 v[34:35], v[196:197], v[226:227]
	v_add_f64 v[92:93], v[92:93], v[74:75]
	v_fma_f64 v[140:141], s[2:3], v[82:83], v[154:155]
	v_fmac_f64_e32 v[154:155], s[12:13], v[82:83]
	v_fma_f64 v[72:73], -0.5, v[72:73], v[0:1]
	v_add_f64 v[74:75], v[32:33], -v[40:41]
	v_add_f64 v[92:93], v[92:93], v[76:77]
	v_fmac_f64_e32 v[140:141], s[14:15], v[80:81]
	v_fmac_f64_e32 v[154:155], s[6:7], v[80:81]
	v_fma_f64 v[76:77], s[2:3], v[74:75], v[72:73]
	v_add_f64 v[80:81], v[34:35], -v[36:37]
	v_add_f64 v[82:83], v[42:43], -v[48:49]
	;; [unrolled: 1-line block ×3, first 2 shown]
	v_fmac_f64_e32 v[72:73], s[12:13], v[74:75]
	v_fmac_f64_e32 v[76:77], s[6:7], v[80:81]
	v_add_f64 v[82:83], v[82:83], v[84:85]
	v_fmac_f64_e32 v[72:73], s[14:15], v[80:81]
	v_fmac_f64_e32 v[76:77], s[10:11], v[82:83]
	;; [unrolled: 1-line block ×3, first 2 shown]
	v_add_f64 v[82:83], v[42:43], v[52:53]
	v_fmac_f64_e32 v[140:141], s[10:11], v[70:71]
	v_fmac_f64_e32 v[154:155], s[10:11], v[70:71]
	v_add_f64 v[70:71], v[0:1], v[42:43]
	v_fma_f64 v[0:1], -0.5, v[82:83], v[0:1]
	v_fma_f64 v[82:83], s[12:13], v[80:81], v[0:1]
	v_fmac_f64_e32 v[0:1], s[2:3], v[80:81]
	v_fmac_f64_e32 v[82:83], s[6:7], v[74:75]
	v_fmac_f64_e32 v[0:1], s[14:15], v[74:75]
	v_add_f64 v[74:75], v[44:45], v[32:33]
	v_add_f64 v[74:75], v[74:75], v[34:35]
	v_add_f64 v[74:75], v[74:75], v[36:37]
	v_add_f64 v[70:71], v[70:71], v[48:49]
	v_add_f64 v[158:159], v[74:75], v[40:41]
	v_add_f64 v[74:75], v[34:35], v[36:37]
	v_add_f64 v[70:71], v[70:71], v[50:51]
	v_add_f64 v[84:85], v[48:49], -v[42:43]
	v_fma_f64 v[160:161], -0.5, v[74:75], v[44:45]
	v_add_f64 v[42:43], v[42:43], -v[52:53]
	v_add_f64 v[70:71], v[70:71], v[52:53]
	v_add_f64 v[86:87], v[50:51], -v[52:53]
	v_fma_f64 v[162:163], s[12:13], v[42:43], v[160:161]
	v_add_f64 v[48:49], v[48:49], -v[50:51]
	v_add_f64 v[50:51], v[32:33], -v[34:35]
	;; [unrolled: 1-line block ×3, first 2 shown]
	v_fmac_f64_e32 v[160:161], s[2:3], v[42:43]
	v_fmac_f64_e32 v[162:163], s[14:15], v[48:49]
	v_add_f64 v[50:51], v[50:51], v[52:53]
	v_fmac_f64_e32 v[160:161], s[6:7], v[48:49]
	v_fmac_f64_e32 v[162:163], s[10:11], v[50:51]
	;; [unrolled: 1-line block ×3, first 2 shown]
	v_add_f64 v[50:51], v[32:33], v[40:41]
	v_add_f64 v[32:33], v[34:35], -v[32:33]
	v_add_f64 v[34:35], v[36:37], -v[40:41]
	v_fma_f64 v[44:45], -0.5, v[50:51], v[44:45]
	v_add_f64 v[32:33], v[32:33], v[34:35]
	v_add_f64 v[34:35], v[26:27], v[28:29]
	;; [unrolled: 1-line block ×3, first 2 shown]
	v_fma_f64 v[164:165], s[2:3], v[48:49], v[44:45]
	v_fmac_f64_e32 v[44:45], s[12:13], v[48:49]
	v_fma_f64 v[34:35], -0.5, v[34:35], v[2:3]
	v_add_f64 v[36:37], v[8:9], -v[20:21]
	v_fmac_f64_e32 v[164:165], s[14:15], v[42:43]
	v_fmac_f64_e32 v[44:45], s[6:7], v[42:43]
	v_fma_f64 v[40:41], s[2:3], v[36:37], v[34:35]
	v_add_f64 v[42:43], v[12:13], -v[18:19]
	v_add_f64 v[48:49], v[24:25], -v[26:27]
	;; [unrolled: 1-line block ×3, first 2 shown]
	v_fmac_f64_e32 v[34:35], s[12:13], v[36:37]
	v_fmac_f64_e32 v[40:41], s[6:7], v[42:43]
	v_add_f64 v[48:49], v[48:49], v[50:51]
	v_fmac_f64_e32 v[34:35], s[14:15], v[42:43]
	v_fmac_f64_e32 v[40:41], s[10:11], v[48:49]
	;; [unrolled: 1-line block ×3, first 2 shown]
	v_add_f64 v[48:49], v[24:25], v[30:31]
	v_fmac_f64_e32 v[164:165], s[10:11], v[32:33]
	v_fmac_f64_e32 v[44:45], s[10:11], v[32:33]
	v_add_f64 v[32:33], v[2:3], v[24:25]
	v_fmac_f64_e32 v[2:3], -0.5, v[48:49]
	v_fma_f64 v[48:49], s[12:13], v[42:43], v[2:3]
	v_fmac_f64_e32 v[2:3], s[2:3], v[42:43]
	v_fmac_f64_e32 v[48:49], s[6:7], v[36:37]
	v_fmac_f64_e32 v[2:3], s[14:15], v[36:37]
	v_add_f64 v[36:37], v[46:47], v[8:9]
	v_add_f64 v[36:37], v[36:37], v[12:13]
	;; [unrolled: 1-line block ×8, first 2 shown]
	v_add_f64 v[50:51], v[26:27], -v[24:25]
	v_fma_f64 v[168:169], -0.5, v[36:37], v[46:47]
	v_add_f64 v[24:25], v[24:25], -v[30:31]
	v_add_f64 v[54:55], v[54:55], v[170:171]
	v_add_f64 v[32:33], v[32:33], v[30:31]
	v_add_f64 v[52:53], v[28:29], -v[30:31]
	v_fma_f64 v[170:171], s[12:13], v[24:25], v[168:169]
	v_add_f64 v[26:27], v[26:27], -v[28:29]
	v_add_f64 v[28:29], v[8:9], -v[12:13]
	v_add_f64 v[30:31], v[20:21], -v[18:19]
	v_fmac_f64_e32 v[168:169], s[2:3], v[24:25]
	v_fmac_f64_e32 v[170:171], s[14:15], v[26:27]
	v_add_f64 v[28:29], v[28:29], v[30:31]
	v_fmac_f64_e32 v[168:169], s[6:7], v[26:27]
	v_fmac_f64_e32 v[170:171], s[10:11], v[28:29]
	;; [unrolled: 1-line block ×3, first 2 shown]
	v_add_f64 v[28:29], v[8:9], v[20:21]
	v_fmac_f64_e32 v[46:47], -0.5, v[28:29]
	v_fma_f64 v[172:173], s[2:3], v[26:27], v[46:47]
	v_add_f64 v[8:9], v[12:13], -v[8:9]
	v_add_f64 v[12:13], v[18:19], -v[20:21]
	v_fmac_f64_e32 v[46:47], s[12:13], v[26:27]
	v_accvgpr_read_b32 v192, a0
	v_fmac_f64_e32 v[172:173], s[14:15], v[24:25]
	v_add_f64 v[8:9], v[8:9], v[12:13]
	v_fmac_f64_e32 v[46:47], s[6:7], v[24:25]
	v_fmac_f64_e32 v[172:173], s[10:11], v[8:9]
	v_fmac_f64_e32 v[46:47], s[10:11], v[8:9]
	v_mov_b32_e32 v8, 0xc08
	v_cmp_lt_u32_e64 s[0:1], 21, v192
	v_accvgpr_read_b32 v9, a14
	v_lshlrev_b32_e32 v9, 3, v9
	v_cndmask_b32_e64 v8, 0, v8, s[0:1]
	s_waitcnt lgkmcnt(0)
	; wave barrier
	ds_write2_b64 v230, v[14:15], v[22:23] offset1:77
	ds_write2_b64 v230, v[38:39], v[130:131] offset0:154 offset1:231
	ds_write_b64 v230, v[16:17] offset:2464
	v_add3_u32 v8, 0, v8, v9
	v_accvgpr_read_b32 v9, a17
	v_mov_b32_e32 v12, 3
	v_accvgpr_read_b32 v13, a18
	v_accvgpr_read_b32 v14, a27
	;; [unrolled: 1-line block ×3, first 2 shown]
	v_mul_u32_u24_e32 v9, 0xc08, v9
	v_lshlrev_b32_sdwa v12, v12, v13 dst_sel:DWORD dst_unused:UNUSED_PAD src0_sel:DWORD src1_sel:BYTE_0
	v_mul_u32_u24_e32 v14, 0xc08, v14
	v_lshlrev_b32_e32 v15, 3, v15
	v_add3_u32 v9, 0, v9, v12
	v_accvgpr_read_b32 v12, a21
	v_add3_u32 v14, 0, v14, v15
	v_accvgpr_read_b32 v15, a26
	v_accvgpr_read_b32 v16, a29
	v_add_f64 v[84:85], v[84:85], v[86:87]
	v_lshl_add_u32 v12, v12, 3, 0
	v_mul_u32_u24_e32 v15, 0xc08, v15
	v_lshlrev_b32_e32 v16, 3, v16
	v_fmac_f64_e32 v[0:1], s[10:11], v[84:85]
	v_add_u32_e32 v13, 0x1800, v12
	v_add3_u32 v15, 0, v15, v16
	v_fmac_f64_e32 v[82:83], s[10:11], v[84:85]
	v_add_f64 v[50:51], v[50:51], v[52:53]
	ds_write2_b64 v8, v[54:55], v[68:69] offset1:77
	ds_write2_b64 v8, v[78:79], v[132:133] offset0:154 offset1:231
	ds_write_b64 v8, v[66:67] offset:2464
	ds_write2_b64 v9, v[98:99], v[106:107] offset1:77
	ds_write2_b64 v9, v[108:109], v[126:127] offset0:154 offset1:231
	ds_write_b64 v9, v[100:101] offset:2464
	ds_write2_b64 v13, v[142:143], v[146:147] offset0:2 offset1:79
	ds_write2_b64 v13, v[148:149], v[128:129] offset0:156 offset1:233
	ds_write_b64 v12, v[144:145] offset:8624
	ds_write2_b64 v14, v[102:103], v[120:121] offset1:77
	ds_write2_b64 v14, v[138:139], v[124:125] offset0:154 offset1:231
	ds_write_b64 v14, v[104:105] offset:2464
	ds_write2_b64 v15, v[70:71], v[76:77] offset1:77
	ds_write2_b64 v15, v[82:83], v[0:1] offset0:154 offset1:231
	ds_write_b64 v15, v[72:73] offset:2464
	v_lshl_add_u32 v0, v58, 3, 0
	v_fmac_f64_e32 v[2:3], s[10:11], v[50:51]
	v_add_u32_e32 v1, 0x3000, v0
	v_fmac_f64_e32 v[48:49], s[10:11], v[50:51]
	ds_write2_b64 v1, v[32:33], v[40:41] offset0:4 offset1:81
	ds_write2_b64 v1, v[48:49], v[2:3] offset0:158 offset1:235
	ds_write_b64 v0, v[34:35] offset:14784
	v_accvgpr_read_b32 v2, a15
	s_waitcnt lgkmcnt(0)
	; wave barrier
	s_waitcnt lgkmcnt(0)
	ds_read2_b64 v[28:31], v2 offset0:129 offset1:184
	v_accvgpr_read_b32 v2, a16
	ds_read_b64 v[142:143], v230
	ds_read2_b64 v[24:27], v2 offset0:75 offset1:130
	ds_read2_b64 v[20:23], v180 offset0:131 offset1:186
	v_accvgpr_read_b32 v2, a20
	v_add_f64 v[4:5], v[4:5], v[200:201]
	ds_read2_b64 v[32:35], v2 offset0:77 offset1:132
	v_accvgpr_read_b32 v2, a19
	v_accvgpr_read_b32 v3, a31
	;; [unrolled: 1-line block ×3, first 2 shown]
	v_add_f64 v[4:5], v[4:5], v[176:177]
	v_accvgpr_read_b32 v178, a8
	v_accvgpr_read_b32 v177, a7
	;; [unrolled: 1-line block ×3, first 2 shown]
	v_add_f64 v[88:89], v[88:89], v[150:151]
	ds_read2_b64 v[36:39], v2 offset0:57 offset1:112
	ds_read2_b64 v[40:43], v231 offset0:59 offset1:114
	;; [unrolled: 1-line block ×4, first 2 shown]
	ds_read_b64 v[148:149], v176
	ds_read2_b64 v[76:79], v2 offset0:167 offset1:222
	ds_read2_b64 v[80:83], v231 offset0:169 offset1:224
	ds_read_b64 v[146:147], v178
	ds_read_b64 v[144:145], v177
	;; [unrolled: 1-line block ×3, first 2 shown]
	v_accvgpr_read_b32 v2, a30
	ds_read2_b64 v[106:109], v2 offset0:93 offset1:148
	ds_read2_b64 v[84:87], v218 offset0:95 offset1:150
	;; [unrolled: 1-line block ×5, first 2 shown]
	v_add_f64 v[4:5], v[4:5], v[202:203]
	s_waitcnt lgkmcnt(0)
	; wave barrier
	s_waitcnt lgkmcnt(0)
	ds_write2_b64 v230, v[4:5], v[10:11] offset1:77
	ds_write2_b64 v230, v[56:57], v[156:157] offset0:154 offset1:231
	ds_write_b64 v230, v[6:7] offset:2464
	ds_write2_b64 v8, v[174:175], v[62:63] offset1:77
	ds_write2_b64 v8, v[64:65], v[136:137] offset0:154 offset1:231
	ds_write_b64 v8, v[60:61] offset:2464
	;; [unrolled: 3-line block ×3, first 2 shown]
	ds_write2_b64 v13, v[114:115], v[118:119] offset0:2 offset1:79
	ds_write2_b64 v13, v[116:117], v[152:153] offset0:156 offset1:233
	ds_write_b64 v12, v[122:123] offset:8624
	ds_write2_b64 v14, v[92:93], v[112:113] offset1:77
	ds_write2_b64 v14, v[140:141], v[154:155] offset0:154 offset1:231
	ds_write_b64 v14, v[96:97] offset:2464
	ds_write2_b64 v15, v[158:159], v[162:163] offset1:77
	ds_write2_b64 v15, v[164:165], v[44:45] offset0:154 offset1:231
	ds_write_b64 v15, v[160:161] offset:2464
	ds_write2_b64 v1, v[166:167], v[170:171] offset0:4 offset1:81
	ds_write2_b64 v1, v[172:173], v[46:47] offset0:158 offset1:235
	ds_write_b64 v0, v[168:169] offset:14784
	s_waitcnt lgkmcnt(0)
	; wave barrier
	s_waitcnt lgkmcnt(0)
	s_and_saveexec_b64 s[0:1], vcc
	s_cbranch_execz .LBB0_23
; %bb.22:
	v_accvgpr_read_b32 v193, a11
	v_lshlrev_b32_e32 v180, 2, v193
	v_lshl_add_u64 v[8:9], v[180:181], 4, s[4:5]
	s_mov_b64 s[0:1], 0x17a0
	v_lshl_add_u64 v[16:17], v[8:9], 0, s[0:1]
	v_add_co_u32_e32 v18, vcc, 0x1000, v8
	global_load_dwordx4 v[0:3], v[16:17], off offset:32
	global_load_dwordx4 v[4:7], v[16:17], off offset:16
	v_addc_co_u32_e32 v19, vcc, 0, v9, vcc
	global_load_dwordx4 v[8:11], v[18:19], off offset:1952
	global_load_dwordx4 v[12:15], v[16:17], off offset:48
	v_accvgpr_read_b32 v196, a2
	v_add_u32_e32 v152, 0x2000, v230
	v_add_u32_e32 v16, 0x1400, v230
	;; [unrolled: 1-line block ×3, first 2 shown]
	v_accvgpr_read_b32 v19, a10
	v_lshlrev_b32_e32 v180, 2, v196
	s_movk_i32 s16, 0x1000
	v_add_u32_e32 v18, 0x3800, v230
	v_add_u32_e32 v19, 0x800, v19
	ds_read2_b64 v[110:113], v152 offset0:21 offset1:76
	ds_read2_b64 v[58:61], v16 offset0:75 offset1:130
	;; [unrolled: 1-line block ×5, first 2 shown]
	v_lshl_add_u64 v[16:17], v[180:181], 4, s[4:5]
	v_lshl_add_u64 v[18:19], v[16:17], 0, s[0:1]
	v_add_co_u32_e32 v16, vcc, s16, v16
	v_add_u32_e32 v153, 0x1800, v230
	s_nop 0
	v_addc_co_u32_e32 v17, vcc, 0, v17, vcc
	global_load_dwordx4 v[118:121], v[16:17], off offset:1952
	global_load_dwordx4 v[126:129], v[18:19], off offset:48
	;; [unrolled: 1-line block ×4, first 2 shown]
	v_add_u32_e32 v154, 0x3000, v230
	s_waitcnt vmcnt(7) lgkmcnt(2)
	v_mul_f64 v[18:19], v[0:1], v[64:65]
	s_waitcnt vmcnt(6)
	v_mul_f64 v[16:17], v[4:5], v[112:113]
	v_mul_f64 v[56:57], v[6:7], v[112:113]
	;; [unrolled: 1-line block ×3, first 2 shown]
	v_fmac_f64_e32 v[16:17], v[50:51], v[6:7]
	s_waitcnt vmcnt(5)
	v_mul_f64 v[6:7], v[8:9], v[58:59]
	v_fmac_f64_e32 v[18:19], v[32:33], v[2:3]
	s_waitcnt vmcnt(4) lgkmcnt(1)
	v_mul_f64 v[64:65], v[12:13], v[116:117]
	v_mul_f64 v[2:3], v[10:11], v[58:59]
	;; [unrolled: 1-line block ×3, first 2 shown]
	v_fmac_f64_e32 v[6:7], v[24:25], v[10:11]
	v_fmac_f64_e32 v[64:65], v[54:55], v[14:15]
	v_fma_f64 v[24:25], v[24:25], v[8:9], -v[2:3]
	v_fma_f64 v[54:55], v[54:55], v[12:13], -v[58:59]
	v_add_f64 v[2:3], v[16:17], v[18:19]
	v_fma_f64 v[50:51], v[50:51], v[4:5], -v[56:57]
	v_fma_f64 v[32:33], v[32:33], v[0:1], -v[62:63]
	v_add_f64 v[4:5], v[16:17], -v[6:7]
	v_add_f64 v[8:9], v[18:19], -v[64:65]
	;; [unrolled: 1-line block ×3, first 2 shown]
	v_add_f64 v[10:11], v[6:7], v[64:65]
	s_waitcnt lgkmcnt(0)
	v_fma_f64 v[14:15], -0.5, v[2:3], v[46:47]
	v_add_f64 v[88:89], v[6:7], v[46:47]
	v_add_f64 v[94:95], v[24:25], v[54:55]
	v_add_f64 v[0:1], v[50:51], -v[32:33]
	v_add_f64 v[56:57], v[16:17], -v[18:19]
	v_add_f64 v[98:99], v[4:5], v[8:9]
	v_fma_f64 v[10:11], -0.5, v[10:11], v[46:47]
	v_fma_f64 v[2:3], s[2:3], v[12:13], v[14:15]
	v_fmac_f64_e32 v[14:15], s[12:13], v[12:13]
	v_add_f64 v[4:5], v[16:17], v[88:89]
	v_fma_f64 v[8:9], -0.5, v[94:95], v[104:105]
	v_add_f64 v[58:59], v[6:7], -v[16:17]
	v_add_f64 v[90:91], v[50:51], -v[24:25]
	;; [unrolled: 1-line block ×4, first 2 shown]
	v_fma_f64 v[6:7], s[12:13], v[0:1], v[10:11]
	v_fmac_f64_e32 v[10:11], s[2:3], v[0:1]
	v_fmac_f64_e32 v[2:3], s[6:7], v[0:1]
	;; [unrolled: 1-line block ×3, first 2 shown]
	v_add_f64 v[0:1], v[18:19], v[4:5]
	v_fma_f64 v[4:5], s[2:3], v[56:57], v[8:9]
	v_fmac_f64_e32 v[8:9], s[12:13], v[56:57]
	v_add_f64 v[62:63], v[64:65], -v[18:19]
	v_add_f64 v[16:17], v[90:91], v[92:93]
	v_fmac_f64_e32 v[6:7], s[6:7], v[12:13]
	v_fmac_f64_e32 v[10:11], s[14:15], v[12:13]
	v_add_f64 v[18:19], v[64:65], v[0:1]
	v_fmac_f64_e32 v[4:5], s[14:15], v[96:97]
	v_fmac_f64_e32 v[8:9], s[6:7], v[96:97]
	v_add_f64 v[0:1], v[24:25], -v[50:51]
	v_add_f64 v[12:13], v[54:55], -v[32:33]
	v_fmac_f64_e32 v[4:5], s[10:11], v[16:17]
	v_fmac_f64_e32 v[8:9], s[10:11], v[16:17]
	v_add_f64 v[16:17], v[0:1], v[12:13]
	v_add_f64 v[0:1], v[50:51], v[32:33]
	v_fma_f64 v[12:13], -0.5, v[0:1], v[104:105]
	v_fma_f64 v[0:1], s[12:13], v[96:97], v[12:13]
	v_fmac_f64_e32 v[12:13], s[2:3], v[96:97]
	v_fmac_f64_e32 v[0:1], s[14:15], v[56:57]
	;; [unrolled: 1-line block ×5, first 2 shown]
	v_add_f64 v[16:17], v[104:105], v[24:25]
	v_add_u32_e32 v24, 0x1000, v230
	ds_read2_b64 v[134:137], v24 offset0:93 offset1:148
	v_accvgpr_read_b32 v24, a13
	v_lshlrev_b32_e32 v180, 2, v24
	v_add_f64 v[16:17], v[50:51], v[16:17]
	v_lshl_add_u64 v[24:25], v[180:181], 4, s[4:5]
	v_add_f64 v[16:17], v[16:17], v[32:33]
	v_lshl_add_u64 v[32:33], v[24:25], 0, s[0:1]
	v_add_co_u32_e32 v24, vcc, s16, v24
	global_load_dwordx4 v[88:91], v[32:33], off offset:32
	global_load_dwordx4 v[92:95], v[32:33], off offset:16
	v_addc_co_u32_e32 v25, vcc, 0, v25, vcc
	global_load_dwordx4 v[138:141], v[24:25], off offset:1952
	global_load_dwordx4 v[156:159], v[32:33], off offset:48
	v_add_f64 v[46:47], v[58:59], v[62:63]
	v_fmac_f64_e32 v[2:3], s[10:11], v[46:47]
	v_fmac_f64_e32 v[14:15], s[10:11], v[46:47]
	v_add_u32_e32 v46, 0x2800, v230
	v_fmac_f64_e32 v[6:7], s[10:11], v[98:99]
	v_fmac_f64_e32 v[10:11], s[10:11], v[98:99]
	ds_read2_b64 v[96:99], v46 offset0:95 offset1:150
	s_waitcnt vmcnt(4)
	v_mul_f64 v[24:25], v[130:131], v[110:111]
	s_waitcnt lgkmcnt(1)
	v_mul_f64 v[56:57], v[118:119], v[136:137]
	v_mul_f64 v[100:101], v[126:127], v[114:115]
	v_fmac_f64_e32 v[24:25], v[48:49], v[132:133]
	s_waitcnt lgkmcnt(0)
	v_mul_f64 v[62:63], v[122:123], v[98:99]
	v_fmac_f64_e32 v[56:57], v[108:109], v[120:121]
	v_fmac_f64_e32 v[62:63], v[86:87], v[124:125]
	;; [unrolled: 1-line block ×3, first 2 shown]
	v_add_f64 v[32:33], v[24:25], -v[56:57]
	v_add_f64 v[46:47], v[62:63], -v[100:101]
	v_add_f64 v[32:33], v[32:33], v[46:47]
	v_mul_f64 v[46:47], v[120:121], v[136:137]
	v_fma_f64 v[104:105], v[108:109], v[118:119], -v[46:47]
	v_mul_f64 v[46:47], v[128:129], v[114:115]
	v_fma_f64 v[108:109], v[52:53], v[126:127], -v[46:47]
	v_add_f64 v[46:47], v[56:57], v[100:101]
	v_add_f64 v[16:17], v[16:17], v[54:55]
	v_fma_f64 v[54:55], -0.5, v[46:47], v[44:45]
	v_mul_f64 v[46:47], v[132:133], v[110:111]
	v_fma_f64 v[110:111], v[48:49], v[130:131], -v[46:47]
	v_mul_f64 v[46:47], v[124:125], v[98:99]
	v_fma_f64 v[86:87], v[86:87], v[122:123], -v[46:47]
	v_add_f64 v[48:49], v[110:111], -v[86:87]
	v_add_f64 v[52:53], v[104:105], -v[108:109]
	v_fma_f64 v[50:51], s[12:13], v[48:49], v[54:55]
	v_fmac_f64_e32 v[54:55], s[2:3], v[48:49]
	v_fmac_f64_e32 v[50:51], s[6:7], v[52:53]
	;; [unrolled: 1-line block ×5, first 2 shown]
	v_add_f64 v[32:33], v[56:57], -v[24:25]
	v_add_f64 v[46:47], v[100:101], -v[62:63]
	v_add_f64 v[32:33], v[32:33], v[46:47]
	v_add_f64 v[46:47], v[24:25], v[62:63]
	v_fma_f64 v[58:59], -0.5, v[46:47], v[44:45]
	v_fma_f64 v[46:47], s[2:3], v[52:53], v[58:59]
	v_fmac_f64_e32 v[58:59], s[12:13], v[52:53]
	v_fmac_f64_e32 v[46:47], s[6:7], v[48:49]
	;; [unrolled: 1-line block ×5, first 2 shown]
	v_add_f64 v[32:33], v[56:57], v[44:45]
	v_add_f64 v[32:33], v[24:25], v[32:33]
	;; [unrolled: 1-line block ×4, first 2 shown]
	v_add_f64 v[32:33], v[110:111], -v[104:105]
	v_add_f64 v[44:45], v[86:87], -v[108:109]
	v_add_f64 v[32:33], v[32:33], v[44:45]
	v_add_f64 v[44:45], v[104:105], v[108:109]
	v_fma_f64 v[52:53], -0.5, v[44:45], v[102:103]
	v_add_f64 v[24:25], v[24:25], -v[62:63]
	v_fma_f64 v[48:49], s[2:3], v[24:25], v[52:53]
	v_add_f64 v[62:63], v[56:57], -v[100:101]
	v_fmac_f64_e32 v[52:53], s[12:13], v[24:25]
	v_fmac_f64_e32 v[48:49], s[14:15], v[62:63]
	;; [unrolled: 1-line block ×5, first 2 shown]
	v_add_f64 v[32:33], v[104:105], -v[110:111]
	v_add_f64 v[44:45], v[108:109], -v[86:87]
	v_add_f64 v[32:33], v[32:33], v[44:45]
	v_add_f64 v[44:45], v[110:111], v[86:87]
	v_fma_f64 v[56:57], -0.5, v[44:45], v[102:103]
	v_fma_f64 v[44:45], s[12:13], v[62:63], v[56:57]
	v_fmac_f64_e32 v[56:57], s[2:3], v[62:63]
	v_fmac_f64_e32 v[44:45], s[14:15], v[24:25]
	;; [unrolled: 1-line block ×3, first 2 shown]
	ds_read2_b64 v[98:101], v153 offset0:167 offset1:222
	v_add_f64 v[24:25], v[102:103], v[104:105]
	ds_read2_b64 v[102:105], v154 offset0:169 offset1:224
	v_add_f64 v[24:25], v[110:111], v[24:25]
	v_add_f64 v[24:25], v[24:25], v[86:87]
	v_fmac_f64_e32 v[44:45], s[10:11], v[32:33]
	v_fmac_f64_e32 v[56:57], s[10:11], v[32:33]
	v_add_f64 v[62:63], v[24:25], v[108:109]
	s_waitcnt vmcnt(2) lgkmcnt(1)
	v_mul_f64 v[24:25], v[92:93], v[100:101]
	s_waitcnt vmcnt(1)
	v_mul_f64 v[32:33], v[138:139], v[134:135]
	v_mul_f64 v[86:87], v[88:89], v[96:97]
	s_waitcnt vmcnt(0) lgkmcnt(0)
	v_mul_f64 v[126:127], v[156:157], v[104:105]
	v_fmac_f64_e32 v[24:25], v[78:79], v[94:95]
	v_fmac_f64_e32 v[32:33], v[106:107], v[140:141]
	;; [unrolled: 1-line block ×4, first 2 shown]
	v_add_f64 v[108:109], v[24:25], -v[32:33]
	v_add_f64 v[110:111], v[86:87], -v[126:127]
	v_add_f64 v[128:129], v[108:109], v[110:111]
	v_mul_f64 v[108:109], v[140:141], v[134:135]
	v_fma_f64 v[124:125], v[106:107], v[138:139], -v[108:109]
	v_accvgpr_read_b32 v106, a9
	v_lshlrev_b32_e32 v180, 2, v106
	v_lshl_add_u64 v[106:107], v[180:181], 4, s[4:5]
	v_lshl_add_u64 v[120:121], v[106:107], 0, s[0:1]
	v_add_co_u32_e32 v106, vcc, s16, v106
	global_load_dwordx4 v[108:111], v[120:121], off offset:32
	global_load_dwordx4 v[112:115], v[120:121], off offset:16
	v_addc_co_u32_e32 v107, vcc, 0, v107, vcc
	global_load_dwordx4 v[116:119], v[106:107], off offset:1952
	v_mul_f64 v[104:105], v[158:159], v[104:105]
	global_load_dwordx4 v[120:123], v[120:121], off offset:48
	v_fma_f64 v[130:131], v[82:83], v[156:157], -v[104:105]
	ds_read_b64 v[82:83], v182
	v_mul_f64 v[94:95], v[94:95], v[100:101]
	v_mul_f64 v[90:91], v[90:91], v[96:97]
	v_fma_f64 v[78:79], v[78:79], v[92:93], -v[94:95]
	v_fma_f64 v[94:95], v[84:85], v[88:89], -v[90:91]
	v_add_f64 v[84:85], v[32:33], -v[24:25]
	v_add_f64 v[92:93], v[126:127], -v[86:87]
	v_add_f64 v[106:107], v[32:33], v[126:127]
	v_add_f64 v[96:97], v[84:85], v[92:93]
	;; [unrolled: 1-line block ×3, first 2 shown]
	v_add_f64 v[104:105], v[124:125], -v[130:131]
	s_waitcnt lgkmcnt(0)
	v_fma_f64 v[106:107], -0.5, v[106:107], v[82:83]
	v_fma_f64 v[92:93], -0.5, v[84:85], v[82:83]
	v_add_f64 v[82:83], v[32:33], v[82:83]
	v_add_f64 v[90:91], v[78:79], -v[94:95]
	v_fma_f64 v[84:85], s[2:3], v[104:105], v[92:93]
	v_fmac_f64_e32 v[92:93], s[12:13], v[104:105]
	v_add_f64 v[82:83], v[24:25], v[82:83]
	v_fmac_f64_e32 v[84:85], s[6:7], v[90:91]
	v_fmac_f64_e32 v[92:93], s[14:15], v[90:91]
	v_add_f64 v[82:83], v[86:87], v[82:83]
	v_fma_f64 v[88:89], s[12:13], v[90:91], v[106:107]
	v_fmac_f64_e32 v[106:107], s[2:3], v[90:91]
	v_fmac_f64_e32 v[84:85], s[10:11], v[96:97]
	;; [unrolled: 1-line block ×3, first 2 shown]
	v_add_f64 v[96:97], v[126:127], v[82:83]
	v_add_f64 v[82:83], v[78:79], -v[124:125]
	v_add_f64 v[90:91], v[94:95], -v[130:131]
	v_add_f64 v[82:83], v[82:83], v[90:91]
	v_add_f64 v[90:91], v[124:125], v[130:131]
	v_fmac_f64_e32 v[88:89], s[6:7], v[104:105]
	v_fmac_f64_e32 v[106:107], s[14:15], v[104:105]
	v_fma_f64 v[104:105], -0.5, v[90:91], v[150:151]
	v_add_f64 v[24:25], v[24:25], -v[86:87]
	v_fma_f64 v[86:87], s[2:3], v[24:25], v[104:105]
	v_add_f64 v[32:33], v[32:33], -v[126:127]
	v_fmac_f64_e32 v[104:105], s[12:13], v[24:25]
	v_fmac_f64_e32 v[86:87], s[14:15], v[32:33]
	;; [unrolled: 1-line block ×5, first 2 shown]
	v_add_f64 v[82:83], v[124:125], -v[78:79]
	v_add_f64 v[90:91], v[130:131], -v[94:95]
	v_add_f64 v[100:101], v[82:83], v[90:91]
	v_add_f64 v[82:83], v[78:79], v[94:95]
	v_fma_f64 v[90:91], -0.5, v[82:83], v[150:151]
	v_fma_f64 v[82:83], s[12:13], v[32:33], v[90:91]
	v_fmac_f64_e32 v[90:91], s[2:3], v[32:33]
	v_fmac_f64_e32 v[82:83], s[14:15], v[24:25]
	;; [unrolled: 1-line block ×3, first 2 shown]
	v_add_f64 v[24:25], v[150:151], v[124:125]
	v_add_f64 v[24:25], v[78:79], v[24:25]
	;; [unrolled: 1-line block ×4, first 2 shown]
	v_add_u32_e32 v24, 0xc00, v230
	ds_read_b64 v[132:133], v178
	ds_read_b64 v[134:135], v177
	;; [unrolled: 1-line block ×3, first 2 shown]
	ds_read2_b64 v[124:127], v24 offset0:111 offset1:166
	v_accvgpr_read_b32 v24, a5
	v_lshlrev_b32_e32 v180, 2, v24
	v_lshl_add_u64 v[24:25], v[180:181], 4, s[4:5]
	v_lshl_add_u64 v[32:33], v[24:25], 0, s[0:1]
	v_add_co_u32_e32 v24, vcc, s16, v24
	v_fmac_f64_e32 v[88:89], s[10:11], v[128:129]
	s_nop 0
	v_addc_co_u32_e32 v25, vcc, 0, v25, vcc
	v_fmac_f64_e32 v[106:107], s[10:11], v[128:129]
	global_load_dwordx4 v[128:131], v[32:33], off offset:32
	global_load_dwordx4 v[138:141], v[32:33], off offset:16
	;; [unrolled: 1-line block ×4, first 2 shown]
	v_add_u32_e32 v78, 0x2400, v230
	ds_read2_b64 v[160:163], v78 offset0:113 offset1:168
	v_fmac_f64_e32 v[82:83], s[10:11], v[100:101]
	s_waitcnt vmcnt(6)
	v_mul_f64 v[24:25], v[112:113], v[98:99]
	v_fmac_f64_e32 v[24:25], v[76:77], v[114:115]
	v_fmac_f64_e32 v[90:91], s[10:11], v[100:101]
	s_waitcnt vmcnt(5) lgkmcnt(1)
	v_mul_f64 v[150:151], v[116:117], v[126:127]
	s_waitcnt lgkmcnt(0)
	v_mul_f64 v[78:79], v[108:109], v[162:163]
	s_waitcnt vmcnt(4)
	v_mul_f64 v[168:169], v[120:121], v[102:103]
	v_fmac_f64_e32 v[150:151], v[74:75], v[118:119]
	v_fmac_f64_e32 v[78:79], v[70:71], v[110:111]
	;; [unrolled: 1-line block ×3, first 2 shown]
	v_add_f64 v[32:33], v[24:25], -v[150:151]
	v_add_f64 v[100:101], v[78:79], -v[168:169]
	v_add_f64 v[32:33], v[32:33], v[100:101]
	v_mul_f64 v[100:101], v[118:119], v[126:127]
	v_fma_f64 v[116:117], v[74:75], v[116:117], -v[100:101]
	ds_read_b64 v[74:75], v176
	v_mul_f64 v[100:101], v[122:123], v[102:103]
	v_fma_f64 v[102:103], v[80:81], v[120:121], -v[100:101]
	v_add_f64 v[80:81], v[150:151], v[168:169]
	v_add_f64 v[118:119], v[116:117], -v[102:103]
	s_waitcnt lgkmcnt(0)
	v_fma_f64 v[100:101], -0.5, v[80:81], v[74:75]
	v_mul_f64 v[80:81], v[114:115], v[98:99]
	v_fma_f64 v[112:113], v[76:77], v[112:113], -v[80:81]
	v_mul_f64 v[76:77], v[110:111], v[162:163]
	v_fma_f64 v[70:71], v[70:71], v[108:109], -v[76:77]
	v_add_f64 v[98:99], v[112:113], -v[70:71]
	v_fma_f64 v[80:81], s[12:13], v[98:99], v[100:101]
	v_fmac_f64_e32 v[100:101], s[2:3], v[98:99]
	v_fmac_f64_e32 v[80:81], s[6:7], v[118:119]
	;; [unrolled: 1-line block ×5, first 2 shown]
	v_add_f64 v[32:33], v[150:151], -v[24:25]
	v_add_f64 v[76:77], v[168:169], -v[78:79]
	v_add_f64 v[32:33], v[32:33], v[76:77]
	v_add_f64 v[76:77], v[24:25], v[78:79]
	v_fma_f64 v[110:111], -0.5, v[76:77], v[74:75]
	v_fma_f64 v[76:77], s[2:3], v[118:119], v[110:111]
	v_fmac_f64_e32 v[110:111], s[12:13], v[118:119]
	v_fmac_f64_e32 v[76:77], s[6:7], v[98:99]
	;; [unrolled: 1-line block ×5, first 2 shown]
	v_add_f64 v[32:33], v[150:151], v[74:75]
	v_add_f64 v[32:33], v[24:25], v[32:33]
	v_add_f64 v[32:33], v[78:79], v[32:33]
	v_add_f64 v[114:115], v[168:169], v[32:33]
	v_add_f64 v[32:33], v[112:113], -v[116:117]
	v_add_f64 v[74:75], v[70:71], -v[102:103]
	v_add_f64 v[32:33], v[32:33], v[74:75]
	v_add_f64 v[74:75], v[116:117], v[102:103]
	v_fma_f64 v[98:99], -0.5, v[74:75], v[148:149]
	v_add_f64 v[24:25], v[24:25], -v[78:79]
	v_fma_f64 v[78:79], s[2:3], v[24:25], v[98:99]
	v_add_f64 v[118:119], v[150:151], -v[168:169]
	v_fmac_f64_e32 v[98:99], s[12:13], v[24:25]
	v_fmac_f64_e32 v[78:79], s[14:15], v[118:119]
	;; [unrolled: 1-line block ×5, first 2 shown]
	v_add_f64 v[32:33], v[116:117], -v[112:113]
	v_add_f64 v[74:75], v[102:103], -v[70:71]
	v_add_f64 v[32:33], v[32:33], v[74:75]
	v_add_f64 v[74:75], v[112:113], v[70:71]
	v_fma_f64 v[108:109], -0.5, v[74:75], v[148:149]
	v_fma_f64 v[74:75], s[12:13], v[118:119], v[108:109]
	v_fmac_f64_e32 v[108:109], s[2:3], v[118:119]
	v_fmac_f64_e32 v[74:75], s[14:15], v[24:25]
	;; [unrolled: 1-line block ×3, first 2 shown]
	v_add_f64 v[24:25], v[148:149], v[116:117]
	v_accvgpr_read_b32 v116, a3
	v_lshlrev_b32_e32 v180, 2, v116
	ds_read2_b64 v[148:151], v154 offset0:59 offset1:114
	v_lshl_add_u64 v[116:117], v[180:181], 4, s[4:5]
	ds_read2_b64 v[168:171], v153 offset0:57 offset1:112
	v_lshl_add_u64 v[118:119], v[116:117], 0, s[0:1]
	v_add_co_u32_e32 v116, vcc, s16, v116
	global_load_dwordx4 v[172:175], v[118:119], off offset:32
	global_load_dwordx4 v[176:179], v[118:119], off offset:16
	v_addc_co_u32_e32 v117, vcc, 0, v117, vcc
	global_load_dwordx4 v[180:183], v[116:117], off offset:1952
	global_load_dwordx4 v[184:187], v[118:119], off offset:48
	v_add_f64 v[24:25], v[112:113], v[24:25]
	v_fmac_f64_e32 v[74:75], s[10:11], v[32:33]
	v_fmac_f64_e32 v[108:109], s[10:11], v[32:33]
	v_add_f64 v[24:25], v[24:25], v[70:71]
	s_waitcnt vmcnt(5)
	v_mul_f64 v[32:33], v[156:157], v[124:125]
	s_waitcnt vmcnt(4) lgkmcnt(1)
	v_mul_f64 v[154:155], v[164:165], v[150:151]
	v_add_f64 v[112:113], v[24:25], v[102:103]
	s_waitcnt lgkmcnt(0)
	v_mul_f64 v[24:25], v[138:139], v[170:171]
	v_fmac_f64_e32 v[32:33], v[72:73], v[158:159]
	v_mul_f64 v[102:103], v[128:129], v[160:161]
	v_fmac_f64_e32 v[154:155], v[42:43], v[166:167]
	v_fmac_f64_e32 v[24:25], v[38:39], v[140:141]
	;; [unrolled: 1-line block ×3, first 2 shown]
	v_add_f64 v[118:119], v[32:33], v[154:155]
	v_add_f64 v[70:71], v[24:25], -v[32:33]
	v_add_f64 v[116:117], v[102:103], -v[154:155]
	v_fma_f64 v[122:123], -0.5, v[118:119], v[132:133]
	v_mul_f64 v[118:119], v[140:141], v[170:171]
	v_add_f64 v[70:71], v[70:71], v[116:117]
	v_mul_f64 v[116:117], v[158:159], v[124:125]
	v_fma_f64 v[38:39], v[38:39], v[138:139], -v[118:119]
	v_mul_f64 v[118:119], v[130:131], v[160:161]
	v_fma_f64 v[72:73], v[72:73], v[156:157], -v[116:117]
	;; [unrolled: 2-line block ×3, first 2 shown]
	v_fma_f64 v[42:43], v[42:43], v[164:165], -v[116:117]
	v_add_f64 v[68:69], v[38:39], -v[128:129]
	v_add_f64 v[116:117], v[72:73], -v[42:43]
	v_fma_f64 v[118:119], s[12:13], v[68:69], v[122:123]
	v_fmac_f64_e32 v[122:123], s[2:3], v[68:69]
	v_fmac_f64_e32 v[118:119], s[6:7], v[116:117]
	;; [unrolled: 1-line block ×5, first 2 shown]
	v_add_f64 v[70:71], v[32:33], -v[24:25]
	v_add_f64 v[120:121], v[154:155], -v[102:103]
	v_add_f64 v[120:121], v[70:71], v[120:121]
	v_add_f64 v[70:71], v[24:25], v[102:103]
	v_fma_f64 v[126:127], -0.5, v[70:71], v[132:133]
	v_fma_f64 v[70:71], s[2:3], v[116:117], v[126:127]
	v_fmac_f64_e32 v[126:127], s[12:13], v[116:117]
	v_fmac_f64_e32 v[70:71], s[6:7], v[68:69]
	;; [unrolled: 1-line block ×3, first 2 shown]
	v_add_f64 v[68:69], v[32:33], v[132:133]
	v_add_f64 v[68:69], v[24:25], v[68:69]
	;; [unrolled: 1-line block ×4, first 2 shown]
	v_add_f64 v[68:69], v[38:39], -v[72:73]
	v_add_f64 v[116:117], v[128:129], -v[42:43]
	v_add_f64 v[68:69], v[68:69], v[116:117]
	v_add_f64 v[116:117], v[72:73], v[42:43]
	v_fmac_f64_e32 v[70:71], s[10:11], v[120:121]
	v_fmac_f64_e32 v[126:127], s[10:11], v[120:121]
	v_fma_f64 v[120:121], -0.5, v[116:117], v[146:147]
	v_add_f64 v[24:25], v[24:25], -v[102:103]
	v_fma_f64 v[116:117], s[2:3], v[24:25], v[120:121]
	v_add_f64 v[32:33], v[32:33], -v[154:155]
	v_fmac_f64_e32 v[120:121], s[12:13], v[24:25]
	v_fmac_f64_e32 v[116:117], s[14:15], v[32:33]
	;; [unrolled: 1-line block ×5, first 2 shown]
	v_add_f64 v[68:69], v[72:73], -v[38:39]
	v_add_f64 v[102:103], v[42:43], -v[128:129]
	v_add_f64 v[102:103], v[68:69], v[102:103]
	v_add_f64 v[68:69], v[38:39], v[128:129]
	v_fma_f64 v[124:125], -0.5, v[68:69], v[146:147]
	v_fma_f64 v[68:69], s[12:13], v[32:33], v[124:125]
	v_fmac_f64_e32 v[124:125], s[2:3], v[32:33]
	v_fmac_f64_e32 v[68:69], s[14:15], v[24:25]
	;; [unrolled: 1-line block ×3, first 2 shown]
	v_add_f64 v[24:25], v[146:147], v[72:73]
	v_add_f64 v[24:25], v[38:39], v[24:25]
	v_add_co_u32_e32 v38, vcc, s16, v194
	v_lshl_add_u64 v[32:33], v[194:195], 0, s[0:1]
	s_nop 0
	v_addc_co_u32_e32 v39, vcc, 0, v195, vcc
	global_load_dwordx4 v[138:141], v[32:33], off offset:32
	global_load_dwordx4 v[154:157], v[32:33], off offset:16
	;; [unrolled: 1-line block ×4, first 2 shown]
	v_add_f64 v[24:25], v[24:25], v[128:129]
	v_add_f64 v[128:129], v[24:25], v[42:43]
	v_add_u32_e32 v24, 0x800, v230
	ds_read2_b64 v[162:165], v24 offset0:129 offset1:184
	ds_read2_b64 v[150:153], v152 offset0:131 offset1:186
	v_fmac_f64_e32 v[68:69], s[10:11], v[102:103]
	v_fmac_f64_e32 v[124:125], s[10:11], v[102:103]
	s_waitcnt vmcnt(6)
	v_mul_f64 v[72:73], v[176:177], v[168:169]
	s_waitcnt vmcnt(5) lgkmcnt(1)
	v_mul_f64 v[102:103], v[180:181], v[164:165]
	s_waitcnt lgkmcnt(0)
	v_mul_f64 v[132:133], v[172:173], v[152:153]
	s_waitcnt vmcnt(4)
	v_mul_f64 v[146:147], v[184:185], v[148:149]
	v_fmac_f64_e32 v[72:73], v[36:37], v[178:179]
	v_fmac_f64_e32 v[102:103], v[30:31], v[182:183]
	;; [unrolled: 1-line block ×4, first 2 shown]
	v_add_f64 v[24:25], v[72:73], -v[102:103]
	v_add_f64 v[32:33], v[132:133], -v[146:147]
	v_add_f64 v[24:25], v[24:25], v[32:33]
	v_mul_f64 v[32:33], v[182:183], v[164:165]
	v_fma_f64 v[164:165], v[30:31], v[180:181], -v[32:33]
	v_add_f64 v[32:33], v[102:103], v[146:147]
	v_fma_f64 v[38:39], -0.5, v[32:33], v[134:135]
	v_mul_f64 v[32:33], v[178:179], v[168:169]
	v_fma_f64 v[166:167], v[36:37], v[176:177], -v[32:33]
	v_mul_f64 v[32:33], v[174:175], v[152:153]
	v_mul_f64 v[30:31], v[186:187], v[148:149]
	v_fma_f64 v[152:153], v[22:23], v[172:173], -v[32:33]
	v_fma_f64 v[148:149], v[40:41], v[184:185], -v[30:31]
	v_add_f64 v[22:23], v[166:167], -v[152:153]
	v_add_f64 v[30:31], v[164:165], -v[148:149]
	v_fma_f64 v[32:33], s[12:13], v[22:23], v[38:39]
	v_fmac_f64_e32 v[38:39], s[2:3], v[22:23]
	v_fmac_f64_e32 v[32:33], s[6:7], v[30:31]
	;; [unrolled: 1-line block ×5, first 2 shown]
	v_add_f64 v[24:25], v[102:103], -v[72:73]
	v_add_f64 v[36:37], v[146:147], -v[132:133]
	v_add_f64 v[36:37], v[24:25], v[36:37]
	v_add_f64 v[24:25], v[72:73], v[132:133]
	v_fma_f64 v[42:43], -0.5, v[24:25], v[134:135]
	v_fma_f64 v[24:25], s[2:3], v[30:31], v[42:43]
	v_fmac_f64_e32 v[42:43], s[12:13], v[30:31]
	v_fmac_f64_e32 v[24:25], s[6:7], v[22:23]
	v_fmac_f64_e32 v[42:43], s[14:15], v[22:23]
	v_add_f64 v[22:23], v[102:103], v[134:135]
	v_add_f64 v[22:23], v[72:73], v[22:23]
	;; [unrolled: 1-line block ×4, first 2 shown]
	v_add_f64 v[22:23], v[166:167], -v[164:165]
	v_add_f64 v[30:31], v[152:153], -v[148:149]
	v_add_f64 v[22:23], v[22:23], v[30:31]
	v_add_f64 v[30:31], v[164:165], v[148:149]
	v_fmac_f64_e32 v[24:25], s[10:11], v[36:37]
	v_fmac_f64_e32 v[42:43], s[10:11], v[36:37]
	v_fma_f64 v[36:37], -0.5, v[30:31], v[144:145]
	v_add_f64 v[72:73], v[72:73], -v[132:133]
	v_fma_f64 v[30:31], s[2:3], v[72:73], v[36:37]
	v_add_f64 v[102:103], v[102:103], -v[146:147]
	v_fmac_f64_e32 v[36:37], s[12:13], v[72:73]
	v_fmac_f64_e32 v[30:31], s[14:15], v[102:103]
	v_fmac_f64_e32 v[36:37], s[6:7], v[102:103]
	v_fmac_f64_e32 v[30:31], s[10:11], v[22:23]
	v_fmac_f64_e32 v[36:37], s[10:11], v[22:23]
	v_add_f64 v[22:23], v[164:165], -v[166:167]
	v_add_f64 v[40:41], v[148:149], -v[152:153]
	v_add_f64 v[132:133], v[22:23], v[40:41]
	v_add_f64 v[22:23], v[166:167], v[152:153]
	v_fma_f64 v[40:41], -0.5, v[22:23], v[144:145]
	v_fma_f64 v[22:23], s[12:13], v[102:103], v[40:41]
	v_fmac_f64_e32 v[40:41], s[2:3], v[102:103]
	v_fmac_f64_e32 v[22:23], s[14:15], v[72:73]
	;; [unrolled: 1-line block ×3, first 2 shown]
	v_add_f64 v[72:73], v[144:145], v[164:165]
	v_add_f64 v[72:73], v[166:167], v[72:73]
	;; [unrolled: 1-line block ×3, first 2 shown]
	v_fmac_f64_e32 v[22:23], s[10:11], v[132:133]
	v_fmac_f64_e32 v[40:41], s[10:11], v[132:133]
	v_add_f64 v[132:133], v[72:73], v[148:149]
	s_waitcnt vmcnt(2)
	v_mul_f64 v[72:73], v[154:155], v[60:61]
	s_waitcnt vmcnt(1)
	v_mul_f64 v[102:103], v[158:159], v[162:163]
	v_mul_f64 v[148:149], v[138:139], v[150:151]
	s_waitcnt vmcnt(0)
	v_mul_f64 v[152:153], v[188:189], v[66:67]
	v_fmac_f64_e32 v[72:73], v[26:27], v[156:157]
	v_fmac_f64_e32 v[102:103], v[28:29], v[160:161]
	;; [unrolled: 1-line block ×4, first 2 shown]
	v_add_f64 v[144:145], v[72:73], -v[102:103]
	v_add_f64 v[146:147], v[148:149], -v[152:153]
	v_add_f64 v[144:145], v[144:145], v[146:147]
	v_mul_f64 v[146:147], v[160:161], v[162:163]
	v_mul_f64 v[60:61], v[156:157], v[60:61]
	v_fma_f64 v[158:159], v[28:29], v[158:159], -v[146:147]
	v_mul_f64 v[28:29], v[190:191], v[66:67]
	v_fma_f64 v[60:61], v[26:27], v[154:155], -v[60:61]
	v_mul_f64 v[26:27], v[140:141], v[150:151]
	v_fma_f64 v[34:35], v[34:35], v[188:189], -v[28:29]
	v_add_f64 v[28:29], v[102:103], v[152:153]
	v_fma_f64 v[20:21], v[20:21], v[138:139], -v[26:27]
	v_fma_f64 v[28:29], -0.5, v[28:29], v[136:137]
	v_add_f64 v[26:27], v[60:61], -v[20:21]
	v_add_f64 v[66:67], v[158:159], -v[34:35]
	v_fma_f64 v[138:139], s[12:13], v[26:27], v[28:29]
	v_fmac_f64_e32 v[28:29], s[2:3], v[26:27]
	v_fmac_f64_e32 v[138:139], s[6:7], v[66:67]
	;; [unrolled: 1-line block ×5, first 2 shown]
	v_add_f64 v[140:141], v[102:103], -v[72:73]
	v_add_f64 v[144:145], v[152:153], -v[148:149]
	v_add_f64 v[140:141], v[140:141], v[144:145]
	v_add_f64 v[144:145], v[72:73], v[148:149]
	v_fma_f64 v[146:147], -0.5, v[144:145], v[136:137]
	v_fma_f64 v[150:151], s[2:3], v[66:67], v[146:147]
	v_fmac_f64_e32 v[146:147], s[12:13], v[66:67]
	v_fmac_f64_e32 v[150:151], s[6:7], v[26:27]
	;; [unrolled: 1-line block ×3, first 2 shown]
	v_add_f64 v[26:27], v[102:103], v[136:137]
	v_add_f64 v[26:27], v[72:73], v[26:27]
	;; [unrolled: 1-line block ×4, first 2 shown]
	v_add_f64 v[26:27], v[60:61], -v[158:159]
	v_add_f64 v[66:67], v[20:21], -v[34:35]
	v_add_f64 v[66:67], v[26:27], v[66:67]
	v_add_f64 v[26:27], v[158:159], v[34:35]
	v_fma_f64 v[26:27], -0.5, v[26:27], v[142:143]
	v_add_f64 v[72:73], v[72:73], -v[148:149]
	v_fma_f64 v[136:137], s[2:3], v[72:73], v[26:27]
	v_add_f64 v[102:103], v[102:103], -v[152:153]
	v_fmac_f64_e32 v[26:27], s[12:13], v[72:73]
	v_fmac_f64_e32 v[136:137], s[14:15], v[102:103]
	;; [unrolled: 1-line block ×7, first 2 shown]
	v_add_f64 v[66:67], v[158:159], -v[60:61]
	v_add_f64 v[140:141], v[34:35], -v[20:21]
	v_add_f64 v[66:67], v[66:67], v[140:141]
	v_add_f64 v[140:141], v[60:61], v[20:21]
	v_fma_f64 v[144:145], -0.5, v[140:141], v[142:143]
	v_fma_f64 v[148:149], s[12:13], v[102:103], v[144:145]
	v_fmac_f64_e32 v[144:145], s[2:3], v[102:103]
	v_fmac_f64_e32 v[148:149], s[14:15], v[72:73]
	;; [unrolled: 1-line block ×5, first 2 shown]
	v_add_f64 v[66:67], v[142:143], v[158:159]
	v_add_f64 v[60:61], v[60:61], v[66:67]
	;; [unrolled: 1-line block ×4, first 2 shown]
	v_mad_u64_u32 v[20:21], s[0:1], s8, v192, 0
	v_mov_b32_e32 v34, v21
	v_mad_u64_u32 v[34:35], s[0:1], s9, v192, v[34:35]
	v_mov_b32_e32 v21, v34
	v_lshl_add_u64 v[20:21], v[20:21], 4, v[216:217]
	v_add_u32_e32 v35, 0x181, v192
	global_store_dwordx4 v[20:21], v[152:155], off
	v_mad_u64_u32 v[20:21], s[0:1], s8, v35, 0
	v_mov_b32_e32 v34, v21
	v_mad_u64_u32 v[34:35], s[0:1], s9, v35, v[34:35]
	v_mov_b32_e32 v21, v34
	v_lshl_add_u64 v[20:21], v[20:21], 4, v[216:217]
	v_add_u32_e32 v35, 0x302, v192
	global_store_dwordx4 v[20:21], v[144:147], off
	v_mad_u64_u32 v[20:21], s[0:1], s8, v35, 0
	v_mov_b32_e32 v34, v21
	v_mad_u64_u32 v[34:35], s[0:1], s9, v35, v[34:35]
	v_mov_b32_e32 v21, v34
	v_lshl_add_u64 v[20:21], v[20:21], 4, v[216:217]
	global_store_dwordx4 v[20:21], v[26:29], off
	s_nop 1
	v_add_u32_e32 v27, 0x483, v192
	v_mad_u64_u32 v[20:21], s[0:1], s8, v27, 0
	v_mov_b32_e32 v26, v21
	v_mad_u64_u32 v[26:27], s[0:1], s9, v27, v[26:27]
	v_mov_b32_e32 v21, v26
	v_lshl_add_u64 v[20:21], v[20:21], 4, v[216:217]
	v_add_u32_e32 v27, 0x604, v192
	global_store_dwordx4 v[20:21], v[136:139], off
	v_mad_u64_u32 v[20:21], s[2:3], s8, v27, 0
	v_mov_b32_e32 v26, v21
	v_mad_u64_u32 v[26:27], s[2:3], s9, v27, v[26:27]
	v_mov_b32_e32 v21, v26
	v_lshl_add_u64 v[20:21], v[20:21], 4, v[216:217]
	v_accvgpr_read_b32 v27, a1
	global_store_dwordx4 v[20:21], v[148:151], off
	v_mad_u64_u32 v[20:21], s[2:3], s8, v27, 0
	v_mov_b32_e32 v26, v21
	v_mad_u64_u32 v[26:27], s[2:3], s9, v27, v[26:27]
	v_mov_b32_e32 v21, v26
	v_lshl_add_u64 v[20:21], v[20:21], 4, v[216:217]
	v_add_u32_e32 v27, 0x1b8, v192
	global_store_dwordx4 v[20:21], v[132:135], off
	v_mad_u64_u32 v[20:21], s[2:3], s8, v27, 0
	v_mov_b32_e32 v26, v21
	v_mad_u64_u32 v[26:27], s[2:3], s9, v27, v[26:27]
	v_mov_b32_e32 v21, v26
	v_lshl_add_u64 v[20:21], v[20:21], 4, v[216:217]
	v_add_u32_e32 v27, 0x339, v192
	;; [unrolled: 7-line block ×4, first 2 shown]
	global_store_dwordx4 v[20:21], v[30:33], off
	v_mad_u64_u32 v[20:21], s[2:3], s8, v27, 0
	v_mov_b32_e32 v26, v21
	v_mad_u64_u32 v[26:27], s[2:3], s9, v27, v[26:27]
	v_mov_b32_e32 v21, v26
	v_lshl_add_u64 v[20:21], v[20:21], 4, v[216:217]
	global_store_dwordx4 v[20:21], v[22:25], off
	s_mov_b32 s1, 0x551c979b
	s_movk_i32 s0, 0x604
	v_add_u32_e32 v23, 0x6e, v192
	v_mad_u64_u32 v[20:21], s[2:3], s8, v23, 0
	v_mov_b32_e32 v22, v21
	v_mad_u64_u32 v[22:23], s[2:3], s9, v23, v[22:23]
	v_mov_b32_e32 v21, v22
	v_lshl_add_u64 v[20:21], v[20:21], 4, v[216:217]
	v_add_u32_e32 v23, 0x1ef, v192
	global_store_dwordx4 v[20:21], v[128:131], off
	v_mad_u64_u32 v[20:21], s[2:3], s8, v23, 0
	v_mov_b32_e32 v22, v21
	v_mad_u64_u32 v[22:23], s[2:3], s9, v23, v[22:23]
	v_mov_b32_e32 v21, v22
	v_lshl_add_u64 v[20:21], v[20:21], 4, v[216:217]
	v_add_u32_e32 v23, 0x370, v192
	global_store_dwordx4 v[20:21], v[124:127], off
	;; [unrolled: 7-line block ×9, first 2 shown]
	v_mad_u64_u32 v[20:21], s[2:3], s8, v23, 0
	v_mov_b32_e32 v22, v21
	v_mad_u64_u32 v[22:23], s[2:3], s9, v23, v[22:23]
	v_mov_b32_e32 v21, v22
	v_lshl_add_u64 v[20:21], v[20:21], 4, v[216:217]
	global_store_dwordx4 v[20:21], v[74:77], off
	v_add_u32_e32 v20, 0xdc, v192
	v_mul_hi_u32 v21, v20, s1
	v_lshrrev_b32_e32 v21, 7, v21
	v_mad_u32_u24 v24, v21, s0, v20
	v_mad_u64_u32 v[20:21], s[2:3], s8, v24, 0
	v_mov_b32_e32 v22, v21
	v_mad_u64_u32 v[22:23], s[2:3], s9, v24, v[22:23]
	v_mov_b32_e32 v21, v22
	v_lshl_add_u64 v[20:21], v[20:21], 4, v[216:217]
	v_add_u32_e32 v23, 0x181, v24
	global_store_dwordx4 v[20:21], v[94:97], off
	v_mad_u64_u32 v[20:21], s[2:3], s8, v23, 0
	v_mov_b32_e32 v22, v21
	v_mad_u64_u32 v[22:23], s[2:3], s9, v23, v[22:23]
	v_mov_b32_e32 v21, v22
	v_lshl_add_u64 v[20:21], v[20:21], 4, v[216:217]
	v_add_u32_e32 v23, 0x302, v24
	global_store_dwordx4 v[20:21], v[90:93], off
	;; [unrolled: 7-line block ×4, first 2 shown]
	v_mad_u64_u32 v[20:21], s[2:3], s8, v23, 0
	v_mov_b32_e32 v22, v21
	v_mad_u64_u32 v[22:23], s[2:3], s9, v23, v[22:23]
	v_mov_b32_e32 v21, v22
	v_lshl_add_u64 v[20:21], v[20:21], 4, v[216:217]
	global_store_dwordx4 v[20:21], v[82:85], off
	v_mad_u64_u32 v[20:21], s[2:3], s8, v196, 0
	v_mov_b32_e32 v22, v21
	v_mad_u64_u32 v[22:23], s[2:3], s9, v196, v[22:23]
	v_mov_b32_e32 v21, v22
	v_lshl_add_u64 v[20:21], v[20:21], 4, v[216:217]
	v_add_u32_e32 v23, 0x294, v192
	global_store_dwordx4 v[20:21], v[62:65], off
	v_mad_u64_u32 v[20:21], s[2:3], s8, v23, 0
	v_mov_b32_e32 v22, v21
	v_mad_u64_u32 v[22:23], s[2:3], s9, v23, v[22:23]
	v_mov_b32_e32 v21, v22
	v_lshl_add_u64 v[20:21], v[20:21], 4, v[216:217]
	v_add_u32_e32 v23, 0x415, v192
	;; [unrolled: 7-line block ×4, first 2 shown]
	global_store_dwordx4 v[20:21], v[48:51], off
	v_mad_u64_u32 v[20:21], s[2:3], s8, v23, 0
	v_mov_b32_e32 v22, v21
	v_mad_u64_u32 v[22:23], s[2:3], s9, v23, v[22:23]
	v_mov_b32_e32 v21, v22
	v_lshl_add_u64 v[20:21], v[20:21], 4, v[216:217]
	global_store_dwordx4 v[20:21], v[44:47], off
	v_mul_hi_u32 v20, v193, s1
	v_lshrrev_b32_e32 v20, 7, v20
	v_mad_u32_u24 v24, v20, s0, v193
	v_mad_u64_u32 v[20:21], s[0:1], s8, v24, 0
	v_mov_b32_e32 v22, v21
	v_mad_u64_u32 v[22:23], s[0:1], s9, v24, v[22:23]
	v_mov_b32_e32 v21, v22
	v_lshl_add_u64 v[20:21], v[20:21], 4, v[216:217]
	global_store_dwordx4 v[20:21], v[16:19], off
	s_nop 1
	v_add_u32_e32 v19, 0x181, v24
	v_mad_u64_u32 v[16:17], s[0:1], s8, v19, 0
	v_mov_b32_e32 v18, v17
	v_mad_u64_u32 v[18:19], s[0:1], s9, v19, v[18:19]
	v_mov_b32_e32 v17, v18
	v_lshl_add_u64 v[16:17], v[16:17], 4, v[216:217]
	global_store_dwordx4 v[16:17], v[12:15], off
	s_nop 1
	v_add_u32_e32 v15, 0x302, v24
	;; [unrolled: 8-line block ×4, first 2 shown]
	v_mad_u64_u32 v[4:5], s[0:1], s8, v7, 0
	v_mov_b32_e32 v6, v5
	v_mad_u64_u32 v[6:7], s[0:1], s9, v7, v[6:7]
	v_mov_b32_e32 v5, v6
	v_lshl_add_u64 v[4:5], v[4:5], 4, v[216:217]
	global_store_dwordx4 v[4:5], v[0:3], off
.LBB0_23:
	s_endpgm
	.section	.rodata,"a",@progbits
	.p2align	6, 0x0
	.amdhsa_kernel fft_rtc_fwd_len1925_factors_7_11_5_5_wgs_55_tpt_55_halfLds_dp_ip_CI_sbrr_dirReg
		.amdhsa_group_segment_fixed_size 0
		.amdhsa_private_segment_fixed_size 0
		.amdhsa_kernarg_size 88
		.amdhsa_user_sgpr_count 2
		.amdhsa_user_sgpr_dispatch_ptr 0
		.amdhsa_user_sgpr_queue_ptr 0
		.amdhsa_user_sgpr_kernarg_segment_ptr 1
		.amdhsa_user_sgpr_dispatch_id 0
		.amdhsa_user_sgpr_kernarg_preload_length 0
		.amdhsa_user_sgpr_kernarg_preload_offset 0
		.amdhsa_user_sgpr_private_segment_size 0
		.amdhsa_uses_dynamic_stack 0
		.amdhsa_enable_private_segment 0
		.amdhsa_system_sgpr_workgroup_id_x 1
		.amdhsa_system_sgpr_workgroup_id_y 0
		.amdhsa_system_sgpr_workgroup_id_z 0
		.amdhsa_system_sgpr_workgroup_info 0
		.amdhsa_system_vgpr_workitem_id 0
		.amdhsa_next_free_vgpr 288
		.amdhsa_next_free_sgpr 38
		.amdhsa_accum_offset 256
		.amdhsa_reserve_vcc 1
		.amdhsa_float_round_mode_32 0
		.amdhsa_float_round_mode_16_64 0
		.amdhsa_float_denorm_mode_32 3
		.amdhsa_float_denorm_mode_16_64 3
		.amdhsa_dx10_clamp 1
		.amdhsa_ieee_mode 1
		.amdhsa_fp16_overflow 0
		.amdhsa_tg_split 0
		.amdhsa_exception_fp_ieee_invalid_op 0
		.amdhsa_exception_fp_denorm_src 0
		.amdhsa_exception_fp_ieee_div_zero 0
		.amdhsa_exception_fp_ieee_overflow 0
		.amdhsa_exception_fp_ieee_underflow 0
		.amdhsa_exception_fp_ieee_inexact 0
		.amdhsa_exception_int_div_zero 0
	.end_amdhsa_kernel
	.text
.Lfunc_end0:
	.size	fft_rtc_fwd_len1925_factors_7_11_5_5_wgs_55_tpt_55_halfLds_dp_ip_CI_sbrr_dirReg, .Lfunc_end0-fft_rtc_fwd_len1925_factors_7_11_5_5_wgs_55_tpt_55_halfLds_dp_ip_CI_sbrr_dirReg
                                        ; -- End function
	.section	.AMDGPU.csdata,"",@progbits
; Kernel info:
; codeLenInByte = 30456
; NumSgprs: 44
; NumVgprs: 256
; NumAgprs: 32
; TotalNumVgprs: 288
; ScratchSize: 0
; MemoryBound: 1
; FloatMode: 240
; IeeeMode: 1
; LDSByteSize: 0 bytes/workgroup (compile time only)
; SGPRBlocks: 5
; VGPRBlocks: 35
; NumSGPRsForWavesPerEU: 44
; NumVGPRsForWavesPerEU: 288
; AccumOffset: 256
; Occupancy: 1
; WaveLimiterHint : 1
; COMPUTE_PGM_RSRC2:SCRATCH_EN: 0
; COMPUTE_PGM_RSRC2:USER_SGPR: 2
; COMPUTE_PGM_RSRC2:TRAP_HANDLER: 0
; COMPUTE_PGM_RSRC2:TGID_X_EN: 1
; COMPUTE_PGM_RSRC2:TGID_Y_EN: 0
; COMPUTE_PGM_RSRC2:TGID_Z_EN: 0
; COMPUTE_PGM_RSRC2:TIDIG_COMP_CNT: 0
; COMPUTE_PGM_RSRC3_GFX90A:ACCUM_OFFSET: 63
; COMPUTE_PGM_RSRC3_GFX90A:TG_SPLIT: 0
	.text
	.p2alignl 6, 3212836864
	.fill 256, 4, 3212836864
	.type	__hip_cuid_43371d333bdc5389,@object ; @__hip_cuid_43371d333bdc5389
	.section	.bss,"aw",@nobits
	.globl	__hip_cuid_43371d333bdc5389
__hip_cuid_43371d333bdc5389:
	.byte	0                               ; 0x0
	.size	__hip_cuid_43371d333bdc5389, 1

	.ident	"AMD clang version 19.0.0git (https://github.com/RadeonOpenCompute/llvm-project roc-6.4.0 25133 c7fe45cf4b819c5991fe208aaa96edf142730f1d)"
	.section	".note.GNU-stack","",@progbits
	.addrsig
	.addrsig_sym __hip_cuid_43371d333bdc5389
	.amdgpu_metadata
---
amdhsa.kernels:
  - .agpr_count:     32
    .args:
      - .actual_access:  read_only
        .address_space:  global
        .offset:         0
        .size:           8
        .value_kind:     global_buffer
      - .offset:         8
        .size:           8
        .value_kind:     by_value
      - .actual_access:  read_only
        .address_space:  global
        .offset:         16
        .size:           8
        .value_kind:     global_buffer
      - .actual_access:  read_only
        .address_space:  global
        .offset:         24
        .size:           8
        .value_kind:     global_buffer
      - .offset:         32
        .size:           8
        .value_kind:     by_value
      - .actual_access:  read_only
        .address_space:  global
        .offset:         40
        .size:           8
        .value_kind:     global_buffer
      - .actual_access:  read_only
        .address_space:  global
        .offset:         48
        .size:           8
        .value_kind:     global_buffer
      - .offset:         56
        .size:           4
        .value_kind:     by_value
      - .actual_access:  read_only
        .address_space:  global
        .offset:         64
        .size:           8
        .value_kind:     global_buffer
      - .actual_access:  read_only
        .address_space:  global
        .offset:         72
        .size:           8
        .value_kind:     global_buffer
      - .address_space:  global
        .offset:         80
        .size:           8
        .value_kind:     global_buffer
    .group_segment_fixed_size: 0
    .kernarg_segment_align: 8
    .kernarg_segment_size: 88
    .language:       OpenCL C
    .language_version:
      - 2
      - 0
    .max_flat_workgroup_size: 55
    .name:           fft_rtc_fwd_len1925_factors_7_11_5_5_wgs_55_tpt_55_halfLds_dp_ip_CI_sbrr_dirReg
    .private_segment_fixed_size: 0
    .sgpr_count:     44
    .sgpr_spill_count: 0
    .symbol:         fft_rtc_fwd_len1925_factors_7_11_5_5_wgs_55_tpt_55_halfLds_dp_ip_CI_sbrr_dirReg.kd
    .uniform_work_group_size: 1
    .uses_dynamic_stack: false
    .vgpr_count:     288
    .vgpr_spill_count: 0
    .wavefront_size: 64
amdhsa.target:   amdgcn-amd-amdhsa--gfx950
amdhsa.version:
  - 1
  - 2
...

	.end_amdgpu_metadata
